;; amdgpu-corpus repo=ROCm/rocBLAS kind=compiled arch=gfx906 opt=O3
	.amdgcn_target "amdgcn-amd-amdhsa--gfx906"
	.amdhsa_code_object_version 6
	.section	.text._ZL19rocblas_syr2_kernelILi128ELi8ELi2EPKfS1_PfEvbiT2_T3_lllS4_lllT4_llli,"axG",@progbits,_ZL19rocblas_syr2_kernelILi128ELi8ELi2EPKfS1_PfEvbiT2_T3_lllS4_lllT4_llli,comdat
	.globl	_ZL19rocblas_syr2_kernelILi128ELi8ELi2EPKfS1_PfEvbiT2_T3_lllS4_lllT4_llli ; -- Begin function _ZL19rocblas_syr2_kernelILi128ELi8ELi2EPKfS1_PfEvbiT2_T3_lllS4_lllT4_llli
	.p2align	8
	.type	_ZL19rocblas_syr2_kernelILi128ELi8ELi2EPKfS1_PfEvbiT2_T3_lllS4_lllT4_llli,@function
_ZL19rocblas_syr2_kernelILi128ELi8ELi2EPKfS1_PfEvbiT2_T3_lllS4_lllT4_llli: ; @_ZL19rocblas_syr2_kernelILi128ELi8ELi2EPKfS1_PfEvbiT2_T3_lllS4_lllT4_llli
; %bb.0:
	s_load_dwordx2 s[0:1], s[4:5], 0x84
	s_waitcnt lgkmcnt(0)
	s_lshr_b32 s2, s0, 16
	s_and_b32 s0, s0, 0xffff
	s_and_b32 s1, s1, 0xffff
	s_mul_i32 s0, s2, s0
	s_mul_i32 s0, s0, s1
	s_cmpk_lg_i32 s0, 0x400
	s_cbranch_scc1 .LBB0_14
; %bb.1:
	s_load_dwordx16 s[12:27], s[4:5], 0x8
	s_waitcnt lgkmcnt(0)
	s_load_dword s9, s[12:13], 0x0
	s_waitcnt lgkmcnt(0)
	v_cmp_eq_f32_e64 s[0:1], s9, 0
	s_and_b64 vcc, exec, s[0:1]
	s_cbranch_vccnz .LBB0_14
; %bb.2:
	s_load_dwordx2 s[10:11], s[4:5], 0x0
	s_load_dwordx2 s[0:1], s[4:5], 0x68
	s_load_dwordx8 s[36:43], s[4:5], 0x48
	v_lshl_add_u32 v10, s7, 3, v1
	v_ashrrev_i32_e32 v6, 31, v10
	s_waitcnt lgkmcnt(0)
	s_bitcmp1_b32 s10, 0
	s_mul_i32 s1, s1, s8
	s_mul_hi_u32 s10, s0, s8
	s_cselect_b64 s[4:5], -1, 0
	s_add_i32 s1, s10, s1
	s_mul_i32 s0, s0, s8
	s_xor_b64 s[4:5], s[4:5], -1
	s_lshl_b64 s[0:1], s[0:1], 2
	s_add_u32 s10, s38, s0
	s_addc_u32 s12, s39, s1
	s_lshl_b64 s[0:1], s[42:43], 2
	s_add_u32 s28, s10, s0
	s_addc_u32 s29, s12, s1
	s_mul_i32 s0, s21, s8
	s_mul_hi_u32 s1, s20, s8
	s_add_i32 s1, s1, s0
	s_mul_i32 s0, s20, s8
	s_lshl_b64 s[0:1], s[0:1], 2
	s_add_u32 s10, s14, s0
	s_addc_u32 s12, s15, s1
	v_mul_lo_u32 v3, s26, v6
	v_mul_lo_u32 v4, s27, v10
	v_mad_u64_u32 v[1:2], s[14:15], s26, v10, 0
	s_lshl_b64 s[0:1], s[16:17], 2
	s_add_u32 s10, s10, s0
	s_addc_u32 s12, s12, s1
	s_mul_i32 s0, s37, s8
	s_mul_hi_u32 s1, s36, s8
	s_add_i32 s1, s1, s0
	s_mul_i32 s0, s36, s8
	v_lshl_add_u32 v0, s6, 8, v0
	v_add3_u32 v2, v2, v3, v4
	v_mul_lo_u32 v8, s18, v6
	v_mul_lo_u32 v9, s19, v10
	v_mad_u64_u32 v[4:5], s[6:7], s18, v10, 0
	v_mul_lo_u32 v11, s40, v6
	v_mul_lo_u32 v13, s41, v10
	v_mad_u64_u32 v[6:7], s[6:7], s40, v10, 0
	s_lshl_b64 s[0:1], s[0:1], 2
	s_add_u32 s8, s22, s0
	s_addc_u32 s13, s23, s1
	s_lshl_b64 s[0:1], s[24:25], 2
	s_add_u32 s8, s8, s0
	v_add3_u32 v5, v5, v8, v9
	v_add3_u32 v7, v7, v11, v13
	s_addc_u32 s13, s13, s1
	v_lshlrev_b64 v[1:2], 2, v[1:2]
	v_lshlrev_b64 v[8:9], 2, v[4:5]
	v_lshlrev_b64 v[6:7], 2, v[6:7]
	s_mov_b64 s[2:3], -1
	v_cmp_le_i32_e64 s[0:1], s11, v10
	v_mov_b32_e32 v3, s13
	v_mov_b32_e32 v12, s12
	;; [unrolled: 1-line block ×3, first 2 shown]
	s_mov_b64 s[6:7], 0
	s_and_b64 vcc, exec, s[4:5]
	s_cbranch_vccz .LBB0_4
; %bb.3:
	v_cmp_gt_i32_e32 vcc, s11, v0
	v_cmp_le_i32_e64 s[2:3], v10, v0
	s_and_b64 s[6:7], s[2:3], vcc
	s_mov_b64 s[2:3], 0
	s_and_b64 s[6:7], s[6:7], exec
.LBB0_4:
	v_add_co_u32_e32 v4, vcc, s8, v1
	v_addc_co_u32_e32 v5, vcc, v3, v2, vcc
	v_add_co_u32_e32 v2, vcc, s10, v8
	v_addc_co_u32_e32 v3, vcc, v12, v9, vcc
	s_andn2_b64 vcc, exec, s[2:3]
	v_add_co_u32_e64 v6, s[2:3], s28, v6
	v_addc_co_u32_e64 v7, s[2:3], v11, v7, s[2:3]
	s_cbranch_vccz .LBB0_8
; %bb.5:
	v_ashrrev_i32_e32 v1, 31, v0
	s_and_saveexec_b64 s[2:3], s[6:7]
	s_cbranch_execnz .LBB0_9
.LBB0_6:
	s_or_b64 exec, exec, s[2:3]
	s_andn2_b64 vcc, exec, s[4:5]
	v_add_u32_e32 v8, 0x80, v0
	s_cbranch_vccnz .LBB0_10
.LBB0_7:
	v_cmp_gt_i32_e32 vcc, s11, v8
	v_cmp_le_i32_e64 s[2:3], v10, v8
	s_and_b64 s[2:3], vcc, s[2:3]
	s_and_b64 s[2:3], s[2:3], exec
	s_cbranch_execz .LBB0_11
	s_branch .LBB0_12
.LBB0_8:
	v_cmp_le_i32_e32 vcc, v0, v10
	s_xor_b64 s[2:3], s[0:1], -1
	s_and_b64 s[2:3], vcc, s[2:3]
	s_andn2_b64 s[6:7], s[6:7], exec
	s_and_b64 s[2:3], s[2:3], exec
	s_or_b64 s[6:7], s[6:7], s[2:3]
	v_ashrrev_i32_e32 v1, 31, v0
	s_and_saveexec_b64 s[2:3], s[6:7]
	s_cbranch_execz .LBB0_6
.LBB0_9:
	v_mul_lo_u32 v11, s19, v0
	v_mul_lo_u32 v12, s18, v1
	v_mad_u64_u32 v[8:9], s[6:7], s18, v0, 0
	v_mul_lo_u32 v14, s27, v0
	v_mul_lo_u32 v15, s26, v1
	v_add3_u32 v9, v9, v12, v11
	v_mad_u64_u32 v[11:12], s[6:7], s26, v0, 0
	v_lshlrev_b64 v[8:9], 2, v[8:9]
	v_mov_b32_e32 v13, s12
	v_add3_u32 v12, v12, v15, v14
	v_add_co_u32_e32 v8, vcc, s10, v8
	v_lshlrev_b64 v[11:12], 2, v[11:12]
	v_addc_co_u32_e32 v9, vcc, v13, v9, vcc
	v_mov_b32_e32 v14, s13
	v_add_co_u32_e32 v11, vcc, s8, v11
	v_addc_co_u32_e32 v12, vcc, v14, v12, vcc
	global_load_dword v13, v[4:5], off
	global_load_dword v14, v[11:12], off
	global_load_dword v15, v[8:9], off
	global_load_dword v16, v[2:3], off
	v_lshlrev_b64 v[8:9], 2, v[0:1]
	v_add_co_u32_e32 v8, vcc, v6, v8
	v_addc_co_u32_e32 v9, vcc, v7, v9, vcc
	global_load_dword v11, v[8:9], off
	s_waitcnt vmcnt(3)
	v_mul_f32_e32 v14, s9, v14
	s_waitcnt vmcnt(2)
	v_mul_f32_e32 v12, s9, v15
	;; [unrolled: 2-line block ×3, first 2 shown]
	v_fmac_f32_e32 v14, v12, v13
	s_waitcnt vmcnt(0)
	v_add_f32_e32 v11, v11, v14
	global_store_dword v[8:9], v11, off
	s_or_b64 exec, exec, s[2:3]
	s_andn2_b64 vcc, exec, s[4:5]
	v_add_u32_e32 v8, 0x80, v0
	s_cbranch_vccz .LBB0_7
.LBB0_10:
	s_mov_b64 s[2:3], 0
.LBB0_11:
	v_cmp_le_i32_e32 vcc, v8, v10
	s_xor_b64 s[0:1], s[0:1], -1
	s_and_b64 s[0:1], s[0:1], vcc
	s_andn2_b64 s[2:3], s[2:3], exec
	s_and_b64 s[0:1], s[0:1], exec
	s_or_b64 s[2:3], s[2:3], s[0:1]
.LBB0_12:
	s_and_saveexec_b64 s[0:1], s[2:3]
	s_cbranch_execz .LBB0_14
; %bb.13:
	v_ashrrev_i32_e32 v11, 31, v8
	v_mul_lo_u32 v12, s19, v8
	v_mad_u64_u32 v[9:10], s[0:1], s18, v8, 0
	v_mul_lo_u32 v13, s18, v11
	v_mul_lo_u32 v14, s27, v8
	v_mul_lo_u32 v15, s26, v11
	v_lshlrev_b64 v[0:1], 2, v[0:1]
	v_add3_u32 v10, v10, v13, v12
	v_mad_u64_u32 v[11:12], s[0:1], s26, v8, 0
	v_lshlrev_b64 v[9:10], 2, v[9:10]
	v_mov_b32_e32 v13, s12
	v_add_co_u32_e32 v8, vcc, s10, v9
	v_add3_u32 v12, v12, v15, v14
	v_addc_co_u32_e32 v9, vcc, v13, v10, vcc
	global_load_dword v10, v[4:5], off
	v_lshlrev_b64 v[4:5], 2, v[11:12]
	v_mov_b32_e32 v11, s13
	v_add_co_u32_e32 v4, vcc, s8, v4
	v_addc_co_u32_e32 v5, vcc, v11, v5, vcc
	global_load_dword v11, v[4:5], off
	global_load_dword v12, v[8:9], off
	;; [unrolled: 1-line block ×3, first 2 shown]
	v_add_co_u32_e32 v0, vcc, v6, v0
	v_addc_co_u32_e32 v1, vcc, v7, v1, vcc
	global_load_dword v2, v[0:1], off offset:512
	s_waitcnt vmcnt(3)
	v_mul_f32_e32 v4, s9, v11
	s_waitcnt vmcnt(2)
	v_mul_f32_e32 v3, s9, v12
	;; [unrolled: 2-line block ×3, first 2 shown]
	v_fmac_f32_e32 v4, v3, v10
	s_waitcnt vmcnt(0)
	v_add_f32_e32 v2, v2, v4
	global_store_dword v[0:1], v2, off offset:512
.LBB0_14:
	s_endpgm
	.section	.rodata,"a",@progbits
	.p2align	6, 0x0
	.amdhsa_kernel _ZL19rocblas_syr2_kernelILi128ELi8ELi2EPKfS1_PfEvbiT2_T3_lllS4_lllT4_llli
		.amdhsa_group_segment_fixed_size 0
		.amdhsa_private_segment_fixed_size 0
		.amdhsa_kernarg_size 376
		.amdhsa_user_sgpr_count 6
		.amdhsa_user_sgpr_private_segment_buffer 1
		.amdhsa_user_sgpr_dispatch_ptr 0
		.amdhsa_user_sgpr_queue_ptr 0
		.amdhsa_user_sgpr_kernarg_segment_ptr 1
		.amdhsa_user_sgpr_dispatch_id 0
		.amdhsa_user_sgpr_flat_scratch_init 0
		.amdhsa_user_sgpr_private_segment_size 0
		.amdhsa_uses_dynamic_stack 0
		.amdhsa_system_sgpr_private_segment_wavefront_offset 0
		.amdhsa_system_sgpr_workgroup_id_x 1
		.amdhsa_system_sgpr_workgroup_id_y 1
		.amdhsa_system_sgpr_workgroup_id_z 1
		.amdhsa_system_sgpr_workgroup_info 0
		.amdhsa_system_vgpr_workitem_id 1
		.amdhsa_next_free_vgpr 17
		.amdhsa_next_free_sgpr 44
		.amdhsa_reserve_vcc 1
		.amdhsa_reserve_flat_scratch 0
		.amdhsa_float_round_mode_32 0
		.amdhsa_float_round_mode_16_64 0
		.amdhsa_float_denorm_mode_32 3
		.amdhsa_float_denorm_mode_16_64 3
		.amdhsa_dx10_clamp 1
		.amdhsa_ieee_mode 1
		.amdhsa_fp16_overflow 0
		.amdhsa_exception_fp_ieee_invalid_op 0
		.amdhsa_exception_fp_denorm_src 0
		.amdhsa_exception_fp_ieee_div_zero 0
		.amdhsa_exception_fp_ieee_overflow 0
		.amdhsa_exception_fp_ieee_underflow 0
		.amdhsa_exception_fp_ieee_inexact 0
		.amdhsa_exception_int_div_zero 0
	.end_amdhsa_kernel
	.section	.text._ZL19rocblas_syr2_kernelILi128ELi8ELi2EPKfS1_PfEvbiT2_T3_lllS4_lllT4_llli,"axG",@progbits,_ZL19rocblas_syr2_kernelILi128ELi8ELi2EPKfS1_PfEvbiT2_T3_lllS4_lllT4_llli,comdat
.Lfunc_end0:
	.size	_ZL19rocblas_syr2_kernelILi128ELi8ELi2EPKfS1_PfEvbiT2_T3_lllS4_lllT4_llli, .Lfunc_end0-_ZL19rocblas_syr2_kernelILi128ELi8ELi2EPKfS1_PfEvbiT2_T3_lllS4_lllT4_llli
                                        ; -- End function
	.set _ZL19rocblas_syr2_kernelILi128ELi8ELi2EPKfS1_PfEvbiT2_T3_lllS4_lllT4_llli.num_vgpr, 17
	.set _ZL19rocblas_syr2_kernelILi128ELi8ELi2EPKfS1_PfEvbiT2_T3_lllS4_lllT4_llli.num_agpr, 0
	.set _ZL19rocblas_syr2_kernelILi128ELi8ELi2EPKfS1_PfEvbiT2_T3_lllS4_lllT4_llli.numbered_sgpr, 44
	.set _ZL19rocblas_syr2_kernelILi128ELi8ELi2EPKfS1_PfEvbiT2_T3_lllS4_lllT4_llli.num_named_barrier, 0
	.set _ZL19rocblas_syr2_kernelILi128ELi8ELi2EPKfS1_PfEvbiT2_T3_lllS4_lllT4_llli.private_seg_size, 0
	.set _ZL19rocblas_syr2_kernelILi128ELi8ELi2EPKfS1_PfEvbiT2_T3_lllS4_lllT4_llli.uses_vcc, 1
	.set _ZL19rocblas_syr2_kernelILi128ELi8ELi2EPKfS1_PfEvbiT2_T3_lllS4_lllT4_llli.uses_flat_scratch, 0
	.set _ZL19rocblas_syr2_kernelILi128ELi8ELi2EPKfS1_PfEvbiT2_T3_lllS4_lllT4_llli.has_dyn_sized_stack, 0
	.set _ZL19rocblas_syr2_kernelILi128ELi8ELi2EPKfS1_PfEvbiT2_T3_lllS4_lllT4_llli.has_recursion, 0
	.set _ZL19rocblas_syr2_kernelILi128ELi8ELi2EPKfS1_PfEvbiT2_T3_lllS4_lllT4_llli.has_indirect_call, 0
	.section	.AMDGPU.csdata,"",@progbits
; Kernel info:
; codeLenInByte = 1056
; TotalNumSgprs: 48
; NumVgprs: 17
; ScratchSize: 0
; MemoryBound: 0
; FloatMode: 240
; IeeeMode: 1
; LDSByteSize: 0 bytes/workgroup (compile time only)
; SGPRBlocks: 5
; VGPRBlocks: 4
; NumSGPRsForWavesPerEU: 48
; NumVGPRsForWavesPerEU: 17
; Occupancy: 10
; WaveLimiterHint : 1
; COMPUTE_PGM_RSRC2:SCRATCH_EN: 0
; COMPUTE_PGM_RSRC2:USER_SGPR: 6
; COMPUTE_PGM_RSRC2:TRAP_HANDLER: 0
; COMPUTE_PGM_RSRC2:TGID_X_EN: 1
; COMPUTE_PGM_RSRC2:TGID_Y_EN: 1
; COMPUTE_PGM_RSRC2:TGID_Z_EN: 1
; COMPUTE_PGM_RSRC2:TIDIG_COMP_CNT: 1
	.section	.text._ZL19rocblas_syr2_kernelILi128ELi8ELi2EfPKfPfEvbiT2_T3_lllS4_lllT4_llli,"axG",@progbits,_ZL19rocblas_syr2_kernelILi128ELi8ELi2EfPKfPfEvbiT2_T3_lllS4_lllT4_llli,comdat
	.globl	_ZL19rocblas_syr2_kernelILi128ELi8ELi2EfPKfPfEvbiT2_T3_lllS4_lllT4_llli ; -- Begin function _ZL19rocblas_syr2_kernelILi128ELi8ELi2EfPKfPfEvbiT2_T3_lllS4_lllT4_llli
	.p2align	8
	.type	_ZL19rocblas_syr2_kernelILi128ELi8ELi2EfPKfPfEvbiT2_T3_lllS4_lllT4_llli,@function
_ZL19rocblas_syr2_kernelILi128ELi8ELi2EfPKfPfEvbiT2_T3_lllS4_lllT4_llli: ; @_ZL19rocblas_syr2_kernelILi128ELi8ELi2EfPKfPfEvbiT2_T3_lllS4_lllT4_llli
; %bb.0:
	s_load_dwordx2 s[0:1], s[4:5], 0x84
	s_load_dwordx4 s[28:31], s[4:5], 0x0
	s_waitcnt lgkmcnt(0)
	s_lshr_b32 s2, s0, 16
	s_and_b32 s0, s0, 0xffff
	s_and_b32 s1, s1, 0xffff
	s_mul_i32 s0, s2, s0
	s_mul_i32 s0, s0, s1
	s_cmpk_lg_i32 s0, 0x400
	s_cselect_b64 s[0:1], -1, 0
	v_cmp_eq_f32_e64 s[2:3], s30, 0
	s_or_b64 s[0:1], s[2:3], s[0:1]
	s_and_b64 vcc, exec, s[0:1]
	s_cbranch_vccnz .LBB1_13
; %bb.1:
	s_load_dwordx8 s[36:43], s[4:5], 0x50
	s_bitcmp1_b32 s28, 0
	s_cselect_b64 s[0:1], -1, 0
	s_xor_b64 s[10:11], s[0:1], -1
	s_load_dwordx16 s[12:27], s[4:5], 0x10
	s_waitcnt lgkmcnt(0)
	s_mul_i32 s0, s43, s8
	s_mul_hi_u32 s1, s42, s8
	s_add_i32 s1, s1, s0
	s_mul_i32 s0, s42, s8
	s_lshl_b64 s[0:1], s[0:1], 2
	s_add_u32 s4, s36, s0
	s_addc_u32 s5, s37, s1
	s_lshl_b64 s[0:1], s[40:41], 2
	s_add_u32 s28, s4, s0
	s_addc_u32 s31, s5, s1
	s_mul_i32 s0, s19, s8
	s_mul_hi_u32 s1, s18, s8
	s_add_i32 s1, s1, s0
	s_mul_i32 s0, s18, s8
	s_lshl_b64 s[0:1], s[0:1], 2
	s_add_u32 s4, s12, s0
	s_addc_u32 s5, s13, s1
	s_lshl_b64 s[0:1], s[14:15], 2
	s_add_u32 s9, s4, s0
	s_addc_u32 s12, s5, s1
	s_mul_i32 s0, s27, s8
	s_mul_hi_u32 s1, s26, s8
	s_add_i32 s1, s1, s0
	s_mul_i32 s0, s26, s8
	s_lshl_b64 s[0:1], s[0:1], 2
	s_add_u32 s4, s20, s0
	v_lshl_add_u32 v10, s7, 3, v1
	s_addc_u32 s13, s21, s1
	s_lshl_b64 s[0:1], s[22:23], 2
	v_ashrrev_i32_e32 v6, 31, v10
	s_add_u32 s8, s4, s0
	v_mul_lo_u32 v3, s24, v6
	v_mul_lo_u32 v4, s25, v10
	v_mad_u64_u32 v[1:2], s[4:5], s24, v10, 0
	v_mul_lo_u32 v8, s16, v6
	v_mul_lo_u32 v9, s17, v10
	v_add3_u32 v2, v2, v3, v4
	v_mad_u64_u32 v[4:5], s[4:5], s16, v10, 0
	v_mul_lo_u32 v11, s38, v6
	v_mul_lo_u32 v13, s39, v10
	v_mad_u64_u32 v[6:7], s[4:5], s38, v10, 0
	v_add3_u32 v5, v5, v8, v9
	s_addc_u32 s7, s13, s1
	v_add3_u32 v7, v7, v11, v13
	v_lshlrev_b64 v[1:2], 2, v[1:2]
	v_lshlrev_b64 v[8:9], 2, v[4:5]
	;; [unrolled: 1-line block ×3, first 2 shown]
	s_mov_b64 s[2:3], -1
	v_lshl_add_u32 v0, s6, 8, v0
	v_cmp_le_i32_e64 s[0:1], s29, v10
	v_mov_b32_e32 v3, s7
	v_mov_b32_e32 v12, s12
	;; [unrolled: 1-line block ×3, first 2 shown]
	s_mov_b64 s[4:5], 0
	s_and_b64 vcc, exec, s[10:11]
	s_cbranch_vccz .LBB1_3
; %bb.2:
	v_cmp_gt_i32_e32 vcc, s29, v0
	v_cmp_le_i32_e64 s[2:3], v10, v0
	s_and_b64 s[4:5], s[2:3], vcc
	s_mov_b64 s[2:3], 0
	s_and_b64 s[4:5], s[4:5], exec
.LBB1_3:
	v_add_co_u32_e32 v4, vcc, s8, v1
	v_addc_co_u32_e32 v5, vcc, v3, v2, vcc
	v_add_co_u32_e32 v2, vcc, s9, v8
	v_addc_co_u32_e32 v3, vcc, v12, v9, vcc
	s_andn2_b64 vcc, exec, s[2:3]
	v_add_co_u32_e64 v6, s[2:3], s28, v6
	v_addc_co_u32_e64 v7, s[2:3], v11, v7, s[2:3]
	s_cbranch_vccz .LBB1_7
; %bb.4:
	v_ashrrev_i32_e32 v1, 31, v0
	s_and_saveexec_b64 s[2:3], s[4:5]
	s_cbranch_execnz .LBB1_8
.LBB1_5:
	s_or_b64 exec, exec, s[2:3]
	s_andn2_b64 vcc, exec, s[10:11]
	v_add_u32_e32 v8, 0x80, v0
	s_cbranch_vccnz .LBB1_9
.LBB1_6:
	v_cmp_gt_i32_e32 vcc, s29, v8
	v_cmp_le_i32_e64 s[2:3], v10, v8
	s_and_b64 s[2:3], vcc, s[2:3]
	s_and_b64 s[2:3], s[2:3], exec
	s_cbranch_execz .LBB1_10
	s_branch .LBB1_11
.LBB1_7:
	v_cmp_le_i32_e32 vcc, v0, v10
	s_xor_b64 s[2:3], s[0:1], -1
	s_and_b64 s[2:3], vcc, s[2:3]
	s_andn2_b64 s[4:5], s[4:5], exec
	s_and_b64 s[2:3], s[2:3], exec
	s_or_b64 s[4:5], s[4:5], s[2:3]
	v_ashrrev_i32_e32 v1, 31, v0
	s_and_saveexec_b64 s[2:3], s[4:5]
	s_cbranch_execz .LBB1_5
.LBB1_8:
	v_mul_lo_u32 v11, s17, v0
	v_mul_lo_u32 v12, s16, v1
	v_mad_u64_u32 v[8:9], s[4:5], s16, v0, 0
	v_mul_lo_u32 v14, s25, v0
	v_mul_lo_u32 v15, s24, v1
	v_add3_u32 v9, v9, v12, v11
	v_mad_u64_u32 v[11:12], s[4:5], s24, v0, 0
	v_lshlrev_b64 v[8:9], 2, v[8:9]
	v_mov_b32_e32 v13, s12
	v_add3_u32 v12, v12, v15, v14
	v_add_co_u32_e32 v8, vcc, s9, v8
	v_lshlrev_b64 v[11:12], 2, v[11:12]
	v_addc_co_u32_e32 v9, vcc, v13, v9, vcc
	v_mov_b32_e32 v14, s7
	v_add_co_u32_e32 v11, vcc, s8, v11
	v_addc_co_u32_e32 v12, vcc, v14, v12, vcc
	global_load_dword v13, v[4:5], off
	global_load_dword v14, v[11:12], off
	;; [unrolled: 1-line block ×4, first 2 shown]
	v_lshlrev_b64 v[8:9], 2, v[0:1]
	v_add_co_u32_e32 v8, vcc, v6, v8
	v_addc_co_u32_e32 v9, vcc, v7, v9, vcc
	global_load_dword v11, v[8:9], off
	s_waitcnt vmcnt(3)
	v_mul_f32_e32 v14, s30, v14
	s_waitcnt vmcnt(2)
	v_mul_f32_e32 v12, s30, v15
	;; [unrolled: 2-line block ×3, first 2 shown]
	v_fmac_f32_e32 v14, v12, v13
	s_waitcnt vmcnt(0)
	v_add_f32_e32 v11, v11, v14
	global_store_dword v[8:9], v11, off
	s_or_b64 exec, exec, s[2:3]
	s_andn2_b64 vcc, exec, s[10:11]
	v_add_u32_e32 v8, 0x80, v0
	s_cbranch_vccz .LBB1_6
.LBB1_9:
	s_mov_b64 s[2:3], 0
.LBB1_10:
	v_cmp_le_i32_e32 vcc, v8, v10
	s_xor_b64 s[0:1], s[0:1], -1
	s_and_b64 s[0:1], s[0:1], vcc
	s_andn2_b64 s[2:3], s[2:3], exec
	s_and_b64 s[0:1], s[0:1], exec
	s_or_b64 s[2:3], s[2:3], s[0:1]
.LBB1_11:
	s_and_saveexec_b64 s[0:1], s[2:3]
	s_cbranch_execz .LBB1_13
; %bb.12:
	v_ashrrev_i32_e32 v11, 31, v8
	v_mul_lo_u32 v12, s17, v8
	v_mad_u64_u32 v[9:10], s[0:1], s16, v8, 0
	v_mul_lo_u32 v13, s16, v11
	v_mul_lo_u32 v14, s25, v8
	;; [unrolled: 1-line block ×3, first 2 shown]
	v_lshlrev_b64 v[0:1], 2, v[0:1]
	v_add3_u32 v10, v10, v13, v12
	v_mad_u64_u32 v[11:12], s[0:1], s24, v8, 0
	v_lshlrev_b64 v[9:10], 2, v[9:10]
	v_mov_b32_e32 v13, s12
	v_add_co_u32_e32 v8, vcc, s9, v9
	v_add3_u32 v12, v12, v15, v14
	v_addc_co_u32_e32 v9, vcc, v13, v10, vcc
	global_load_dword v10, v[4:5], off
	v_lshlrev_b64 v[4:5], 2, v[11:12]
	v_mov_b32_e32 v11, s7
	v_add_co_u32_e32 v4, vcc, s8, v4
	v_addc_co_u32_e32 v5, vcc, v11, v5, vcc
	global_load_dword v11, v[4:5], off
	global_load_dword v12, v[8:9], off
	;; [unrolled: 1-line block ×3, first 2 shown]
	v_add_co_u32_e32 v0, vcc, v6, v0
	v_addc_co_u32_e32 v1, vcc, v7, v1, vcc
	global_load_dword v2, v[0:1], off offset:512
	s_waitcnt vmcnt(3)
	v_mul_f32_e32 v4, s30, v11
	s_waitcnt vmcnt(2)
	v_mul_f32_e32 v3, s30, v12
	;; [unrolled: 2-line block ×3, first 2 shown]
	v_fmac_f32_e32 v4, v3, v10
	s_waitcnt vmcnt(0)
	v_add_f32_e32 v2, v2, v4
	global_store_dword v[0:1], v2, off offset:512
.LBB1_13:
	s_endpgm
	.section	.rodata,"a",@progbits
	.p2align	6, 0x0
	.amdhsa_kernel _ZL19rocblas_syr2_kernelILi128ELi8ELi2EfPKfPfEvbiT2_T3_lllS4_lllT4_llli
		.amdhsa_group_segment_fixed_size 0
		.amdhsa_private_segment_fixed_size 0
		.amdhsa_kernarg_size 376
		.amdhsa_user_sgpr_count 6
		.amdhsa_user_sgpr_private_segment_buffer 1
		.amdhsa_user_sgpr_dispatch_ptr 0
		.amdhsa_user_sgpr_queue_ptr 0
		.amdhsa_user_sgpr_kernarg_segment_ptr 1
		.amdhsa_user_sgpr_dispatch_id 0
		.amdhsa_user_sgpr_flat_scratch_init 0
		.amdhsa_user_sgpr_private_segment_size 0
		.amdhsa_uses_dynamic_stack 0
		.amdhsa_system_sgpr_private_segment_wavefront_offset 0
		.amdhsa_system_sgpr_workgroup_id_x 1
		.amdhsa_system_sgpr_workgroup_id_y 1
		.amdhsa_system_sgpr_workgroup_id_z 1
		.amdhsa_system_sgpr_workgroup_info 0
		.amdhsa_system_vgpr_workitem_id 1
		.amdhsa_next_free_vgpr 17
		.amdhsa_next_free_sgpr 44
		.amdhsa_reserve_vcc 1
		.amdhsa_reserve_flat_scratch 0
		.amdhsa_float_round_mode_32 0
		.amdhsa_float_round_mode_16_64 0
		.amdhsa_float_denorm_mode_32 3
		.amdhsa_float_denorm_mode_16_64 3
		.amdhsa_dx10_clamp 1
		.amdhsa_ieee_mode 1
		.amdhsa_fp16_overflow 0
		.amdhsa_exception_fp_ieee_invalid_op 0
		.amdhsa_exception_fp_denorm_src 0
		.amdhsa_exception_fp_ieee_div_zero 0
		.amdhsa_exception_fp_ieee_overflow 0
		.amdhsa_exception_fp_ieee_underflow 0
		.amdhsa_exception_fp_ieee_inexact 0
		.amdhsa_exception_int_div_zero 0
	.end_amdhsa_kernel
	.section	.text._ZL19rocblas_syr2_kernelILi128ELi8ELi2EfPKfPfEvbiT2_T3_lllS4_lllT4_llli,"axG",@progbits,_ZL19rocblas_syr2_kernelILi128ELi8ELi2EfPKfPfEvbiT2_T3_lllS4_lllT4_llli,comdat
.Lfunc_end1:
	.size	_ZL19rocblas_syr2_kernelILi128ELi8ELi2EfPKfPfEvbiT2_T3_lllS4_lllT4_llli, .Lfunc_end1-_ZL19rocblas_syr2_kernelILi128ELi8ELi2EfPKfPfEvbiT2_T3_lllS4_lllT4_llli
                                        ; -- End function
	.set _ZL19rocblas_syr2_kernelILi128ELi8ELi2EfPKfPfEvbiT2_T3_lllS4_lllT4_llli.num_vgpr, 17
	.set _ZL19rocblas_syr2_kernelILi128ELi8ELi2EfPKfPfEvbiT2_T3_lllS4_lllT4_llli.num_agpr, 0
	.set _ZL19rocblas_syr2_kernelILi128ELi8ELi2EfPKfPfEvbiT2_T3_lllS4_lllT4_llli.numbered_sgpr, 44
	.set _ZL19rocblas_syr2_kernelILi128ELi8ELi2EfPKfPfEvbiT2_T3_lllS4_lllT4_llli.num_named_barrier, 0
	.set _ZL19rocblas_syr2_kernelILi128ELi8ELi2EfPKfPfEvbiT2_T3_lllS4_lllT4_llli.private_seg_size, 0
	.set _ZL19rocblas_syr2_kernelILi128ELi8ELi2EfPKfPfEvbiT2_T3_lllS4_lllT4_llli.uses_vcc, 1
	.set _ZL19rocblas_syr2_kernelILi128ELi8ELi2EfPKfPfEvbiT2_T3_lllS4_lllT4_llli.uses_flat_scratch, 0
	.set _ZL19rocblas_syr2_kernelILi128ELi8ELi2EfPKfPfEvbiT2_T3_lllS4_lllT4_llli.has_dyn_sized_stack, 0
	.set _ZL19rocblas_syr2_kernelILi128ELi8ELi2EfPKfPfEvbiT2_T3_lllS4_lllT4_llli.has_recursion, 0
	.set _ZL19rocblas_syr2_kernelILi128ELi8ELi2EfPKfPfEvbiT2_T3_lllS4_lllT4_llli.has_indirect_call, 0
	.section	.AMDGPU.csdata,"",@progbits
; Kernel info:
; codeLenInByte = 1036
; TotalNumSgprs: 48
; NumVgprs: 17
; ScratchSize: 0
; MemoryBound: 0
; FloatMode: 240
; IeeeMode: 1
; LDSByteSize: 0 bytes/workgroup (compile time only)
; SGPRBlocks: 5
; VGPRBlocks: 4
; NumSGPRsForWavesPerEU: 48
; NumVGPRsForWavesPerEU: 17
; Occupancy: 10
; WaveLimiterHint : 0
; COMPUTE_PGM_RSRC2:SCRATCH_EN: 0
; COMPUTE_PGM_RSRC2:USER_SGPR: 6
; COMPUTE_PGM_RSRC2:TRAP_HANDLER: 0
; COMPUTE_PGM_RSRC2:TGID_X_EN: 1
; COMPUTE_PGM_RSRC2:TGID_Y_EN: 1
; COMPUTE_PGM_RSRC2:TGID_Z_EN: 1
; COMPUTE_PGM_RSRC2:TIDIG_COMP_CNT: 1
	.section	.text._ZL19rocblas_syr2_kernelILi128ELi8ELi1EPKdS1_PdEvbiT2_T3_lllS4_lllT4_llli,"axG",@progbits,_ZL19rocblas_syr2_kernelILi128ELi8ELi1EPKdS1_PdEvbiT2_T3_lllS4_lllT4_llli,comdat
	.globl	_ZL19rocblas_syr2_kernelILi128ELi8ELi1EPKdS1_PdEvbiT2_T3_lllS4_lllT4_llli ; -- Begin function _ZL19rocblas_syr2_kernelILi128ELi8ELi1EPKdS1_PdEvbiT2_T3_lllS4_lllT4_llli
	.p2align	8
	.type	_ZL19rocblas_syr2_kernelILi128ELi8ELi1EPKdS1_PdEvbiT2_T3_lllS4_lllT4_llli,@function
_ZL19rocblas_syr2_kernelILi128ELi8ELi1EPKdS1_PdEvbiT2_T3_lllS4_lllT4_llli: ; @_ZL19rocblas_syr2_kernelILi128ELi8ELi1EPKdS1_PdEvbiT2_T3_lllS4_lllT4_llli
; %bb.0:
	s_load_dwordx2 s[0:1], s[4:5], 0x84
	s_waitcnt lgkmcnt(0)
	s_lshr_b32 s2, s0, 16
	s_and_b32 s0, s0, 0xffff
	s_and_b32 s1, s1, 0xffff
	s_mul_i32 s0, s2, s0
	s_mul_i32 s0, s0, s1
	s_cmpk_lg_i32 s0, 0x400
	s_cbranch_scc1 .LBB2_6
; %bb.1:
	s_load_dwordx16 s[12:27], s[4:5], 0x8
	s_mov_b64 s[10:11], 0
	s_waitcnt lgkmcnt(0)
	s_load_dwordx2 s[2:3], s[12:13], 0x0
	s_waitcnt lgkmcnt(0)
	v_cmp_eq_f64_e64 s[0:1], s[2:3], 0
	s_and_b64 vcc, exec, s[0:1]
	s_cbranch_vccnz .LBB2_6
; %bb.2:
	s_load_dwordx2 s[12:13], s[4:5], 0x0
	v_lshl_add_u32 v0, s6, 7, v0
	v_lshl_add_u32 v1, s7, 3, v1
	s_mov_b64 s[0:1], -1
	s_waitcnt lgkmcnt(0)
	s_bitcmp0_b32 s12, 0
	s_cbranch_scc1 .LBB2_7
; %bb.3:
	s_andn2_b64 vcc, exec, s[0:1]
	s_cbranch_vccz .LBB2_8
.LBB2_4:
	s_and_saveexec_b64 s[0:1], s[10:11]
	s_cbranch_execz .LBB2_6
.LBB2_5:
	s_load_dwordx2 s[0:1], s[4:5], 0x68
	s_load_dwordx8 s[36:43], s[4:5], 0x48
	v_ashrrev_i32_e32 v6, 31, v1
	v_mul_lo_u32 v9, s19, v1
	v_mul_lo_u32 v10, s18, v6
	s_waitcnt lgkmcnt(0)
	s_mul_i32 s1, s1, s8
	s_mul_hi_u32 s4, s0, s8
	s_mul_i32 s0, s0, s8
	s_add_i32 s1, s4, s1
	s_lshl_b64 s[0:1], s[0:1], 3
	s_add_u32 s4, s38, s0
	s_addc_u32 s5, s39, s1
	s_lshl_b64 s[0:1], s[42:43], 3
	s_add_u32 s4, s4, s0
	s_addc_u32 s5, s5, s1
	s_mul_i32 s0, s21, s8
	s_mul_hi_u32 s1, s20, s8
	s_add_i32 s1, s1, s0
	s_mul_i32 s0, s20, s8
	s_lshl_b64 s[0:1], s[0:1], 3
	s_add_u32 s6, s14, s0
	s_addc_u32 s7, s15, s1
	s_lshl_b64 s[0:1], s[16:17], 3
	s_add_u32 s6, s6, s0
	s_addc_u32 s7, s7, s1
	s_mul_i32 s0, s37, s8
	s_mul_hi_u32 s1, s36, s8
	s_add_i32 s1, s1, s0
	s_mul_i32 s0, s36, s8
	s_lshl_b64 s[0:1], s[0:1], 3
	s_add_u32 s8, s22, s0
	s_addc_u32 s9, s23, s1
	s_lshl_b64 s[0:1], s[24:25], 3
	s_add_u32 s8, s8, s0
	s_addc_u32 s9, s9, s1
	v_mad_u64_u32 v[4:5], s[0:1], s18, v1, 0
	v_mul_lo_u32 v7, s27, v1
	v_mul_lo_u32 v8, s26, v6
	v_mad_u64_u32 v[2:3], s[0:1], s26, v1, 0
	v_add3_u32 v5, v5, v10, v9
	v_lshlrev_b64 v[4:5], 3, v[4:5]
	v_add3_u32 v3, v3, v8, v7
	v_mov_b32_e32 v7, s7
	v_add_co_u32_e32 v4, vcc, s6, v4
	v_addc_co_u32_e32 v5, vcc, v7, v5, vcc
	v_mul_lo_u32 v17, s41, v1
	v_mul_lo_u32 v18, s40, v6
	v_mad_u64_u32 v[6:7], s[0:1], s40, v1, 0
	v_ashrrev_i32_e32 v1, 31, v0
	v_mul_lo_u32 v14, s27, v0
	v_mul_lo_u32 v15, s26, v1
	v_mad_u64_u32 v[10:11], s[0:1], s26, v0, 0
	v_mul_lo_u32 v12, s19, v0
	v_mul_lo_u32 v13, s18, v1
	v_mad_u64_u32 v[8:9], s[0:1], s18, v0, 0
	v_add3_u32 v11, v11, v15, v14
	v_lshlrev_b64 v[10:11], 3, v[10:11]
	v_add3_u32 v9, v9, v13, v12
	v_mov_b32_e32 v13, s9
	v_add_co_u32_e32 v10, vcc, s8, v10
	v_addc_co_u32_e32 v11, vcc, v13, v11, vcc
	global_load_dwordx2 v[10:11], v[10:11], off
	v_lshlrev_b64 v[8:9], 3, v[8:9]
	v_mov_b32_e32 v12, s7
	v_add_co_u32_e32 v8, vcc, s6, v8
	v_addc_co_u32_e32 v9, vcc, v12, v9, vcc
	global_load_dwordx2 v[12:13], v[8:9], off
	global_load_dwordx2 v[14:15], v[4:5], off
	v_lshlrev_b64 v[2:3], 3, v[2:3]
	v_mov_b32_e32 v16, s9
	v_add_co_u32_e32 v2, vcc, s8, v2
	v_addc_co_u32_e32 v3, vcc, v16, v3, vcc
	global_load_dwordx2 v[2:3], v[2:3], off
	v_add3_u32 v7, v7, v18, v17
	v_lshlrev_b64 v[4:5], 3, v[6:7]
	v_mov_b32_e32 v6, s5
	v_add_co_u32_e32 v4, vcc, s4, v4
	v_lshlrev_b64 v[0:1], 3, v[0:1]
	v_addc_co_u32_e32 v5, vcc, v6, v5, vcc
	v_add_co_u32_e32 v0, vcc, v4, v0
	v_addc_co_u32_e32 v1, vcc, v5, v1, vcc
	global_load_dwordx2 v[4:5], v[0:1], off
	s_waitcnt vmcnt(4)
	v_mul_f64 v[6:7], s[2:3], v[10:11]
	s_waitcnt vmcnt(3)
	v_mul_f64 v[8:9], s[2:3], v[12:13]
	;; [unrolled: 2-line block ×3, first 2 shown]
	s_waitcnt vmcnt(1)
	v_fma_f64 v[2:3], v[8:9], v[2:3], v[6:7]
	s_waitcnt vmcnt(0)
	v_add_f64 v[2:3], v[4:5], v[2:3]
	global_store_dwordx2 v[0:1], v[2:3], off
.LBB2_6:
	s_endpgm
.LBB2_7:
	v_cmp_gt_i32_e32 vcc, s13, v0
	v_cmp_le_i32_e64 s[0:1], v1, v0
	s_and_b64 s[6:7], s[0:1], vcc
	s_and_b64 s[10:11], s[6:7], exec
	s_cbranch_execnz .LBB2_4
.LBB2_8:
	v_cmp_gt_i32_e32 vcc, s13, v1
	v_cmp_le_i32_e64 s[0:1], v0, v1
	s_and_b64 s[0:1], s[0:1], vcc
	s_andn2_b64 s[6:7], s[10:11], exec
	s_and_b64 s[0:1], s[0:1], exec
	s_or_b64 s[10:11], s[6:7], s[0:1]
	s_and_saveexec_b64 s[0:1], s[10:11]
	s_cbranch_execnz .LBB2_5
	s_branch .LBB2_6
	.section	.rodata,"a",@progbits
	.p2align	6, 0x0
	.amdhsa_kernel _ZL19rocblas_syr2_kernelILi128ELi8ELi1EPKdS1_PdEvbiT2_T3_lllS4_lllT4_llli
		.amdhsa_group_segment_fixed_size 0
		.amdhsa_private_segment_fixed_size 0
		.amdhsa_kernarg_size 376
		.amdhsa_user_sgpr_count 6
		.amdhsa_user_sgpr_private_segment_buffer 1
		.amdhsa_user_sgpr_dispatch_ptr 0
		.amdhsa_user_sgpr_queue_ptr 0
		.amdhsa_user_sgpr_kernarg_segment_ptr 1
		.amdhsa_user_sgpr_dispatch_id 0
		.amdhsa_user_sgpr_flat_scratch_init 0
		.amdhsa_user_sgpr_private_segment_size 0
		.amdhsa_uses_dynamic_stack 0
		.amdhsa_system_sgpr_private_segment_wavefront_offset 0
		.amdhsa_system_sgpr_workgroup_id_x 1
		.amdhsa_system_sgpr_workgroup_id_y 1
		.amdhsa_system_sgpr_workgroup_id_z 1
		.amdhsa_system_sgpr_workgroup_info 0
		.amdhsa_system_vgpr_workitem_id 1
		.amdhsa_next_free_vgpr 19
		.amdhsa_next_free_sgpr 44
		.amdhsa_reserve_vcc 1
		.amdhsa_reserve_flat_scratch 0
		.amdhsa_float_round_mode_32 0
		.amdhsa_float_round_mode_16_64 0
		.amdhsa_float_denorm_mode_32 3
		.amdhsa_float_denorm_mode_16_64 3
		.amdhsa_dx10_clamp 1
		.amdhsa_ieee_mode 1
		.amdhsa_fp16_overflow 0
		.amdhsa_exception_fp_ieee_invalid_op 0
		.amdhsa_exception_fp_denorm_src 0
		.amdhsa_exception_fp_ieee_div_zero 0
		.amdhsa_exception_fp_ieee_overflow 0
		.amdhsa_exception_fp_ieee_underflow 0
		.amdhsa_exception_fp_ieee_inexact 0
		.amdhsa_exception_int_div_zero 0
	.end_amdhsa_kernel
	.section	.text._ZL19rocblas_syr2_kernelILi128ELi8ELi1EPKdS1_PdEvbiT2_T3_lllS4_lllT4_llli,"axG",@progbits,_ZL19rocblas_syr2_kernelILi128ELi8ELi1EPKdS1_PdEvbiT2_T3_lllS4_lllT4_llli,comdat
.Lfunc_end2:
	.size	_ZL19rocblas_syr2_kernelILi128ELi8ELi1EPKdS1_PdEvbiT2_T3_lllS4_lllT4_llli, .Lfunc_end2-_ZL19rocblas_syr2_kernelILi128ELi8ELi1EPKdS1_PdEvbiT2_T3_lllS4_lllT4_llli
                                        ; -- End function
	.set _ZL19rocblas_syr2_kernelILi128ELi8ELi1EPKdS1_PdEvbiT2_T3_lllS4_lllT4_llli.num_vgpr, 19
	.set _ZL19rocblas_syr2_kernelILi128ELi8ELi1EPKdS1_PdEvbiT2_T3_lllS4_lllT4_llli.num_agpr, 0
	.set _ZL19rocblas_syr2_kernelILi128ELi8ELi1EPKdS1_PdEvbiT2_T3_lllS4_lllT4_llli.numbered_sgpr, 44
	.set _ZL19rocblas_syr2_kernelILi128ELi8ELi1EPKdS1_PdEvbiT2_T3_lllS4_lllT4_llli.num_named_barrier, 0
	.set _ZL19rocblas_syr2_kernelILi128ELi8ELi1EPKdS1_PdEvbiT2_T3_lllS4_lllT4_llli.private_seg_size, 0
	.set _ZL19rocblas_syr2_kernelILi128ELi8ELi1EPKdS1_PdEvbiT2_T3_lllS4_lllT4_llli.uses_vcc, 1
	.set _ZL19rocblas_syr2_kernelILi128ELi8ELi1EPKdS1_PdEvbiT2_T3_lllS4_lllT4_llli.uses_flat_scratch, 0
	.set _ZL19rocblas_syr2_kernelILi128ELi8ELi1EPKdS1_PdEvbiT2_T3_lllS4_lllT4_llli.has_dyn_sized_stack, 0
	.set _ZL19rocblas_syr2_kernelILi128ELi8ELi1EPKdS1_PdEvbiT2_T3_lllS4_lllT4_llli.has_recursion, 0
	.set _ZL19rocblas_syr2_kernelILi128ELi8ELi1EPKdS1_PdEvbiT2_T3_lllS4_lllT4_llli.has_indirect_call, 0
	.section	.AMDGPU.csdata,"",@progbits
; Kernel info:
; codeLenInByte = 748
; TotalNumSgprs: 48
; NumVgprs: 19
; ScratchSize: 0
; MemoryBound: 0
; FloatMode: 240
; IeeeMode: 1
; LDSByteSize: 0 bytes/workgroup (compile time only)
; SGPRBlocks: 5
; VGPRBlocks: 4
; NumSGPRsForWavesPerEU: 48
; NumVGPRsForWavesPerEU: 19
; Occupancy: 10
; WaveLimiterHint : 0
; COMPUTE_PGM_RSRC2:SCRATCH_EN: 0
; COMPUTE_PGM_RSRC2:USER_SGPR: 6
; COMPUTE_PGM_RSRC2:TRAP_HANDLER: 0
; COMPUTE_PGM_RSRC2:TGID_X_EN: 1
; COMPUTE_PGM_RSRC2:TGID_Y_EN: 1
; COMPUTE_PGM_RSRC2:TGID_Z_EN: 1
; COMPUTE_PGM_RSRC2:TIDIG_COMP_CNT: 1
	.section	.text._ZL19rocblas_syr2_kernelILi128ELi8ELi1EdPKdPdEvbiT2_T3_lllS4_lllT4_llli,"axG",@progbits,_ZL19rocblas_syr2_kernelILi128ELi8ELi1EdPKdPdEvbiT2_T3_lllS4_lllT4_llli,comdat
	.globl	_ZL19rocblas_syr2_kernelILi128ELi8ELi1EdPKdPdEvbiT2_T3_lllS4_lllT4_llli ; -- Begin function _ZL19rocblas_syr2_kernelILi128ELi8ELi1EdPKdPdEvbiT2_T3_lllS4_lllT4_llli
	.p2align	8
	.type	_ZL19rocblas_syr2_kernelILi128ELi8ELi1EdPKdPdEvbiT2_T3_lllS4_lllT4_llli,@function
_ZL19rocblas_syr2_kernelILi128ELi8ELi1EdPKdPdEvbiT2_T3_lllS4_lllT4_llli: ; @_ZL19rocblas_syr2_kernelILi128ELi8ELi1EdPKdPdEvbiT2_T3_lllS4_lllT4_llli
; %bb.0:
	s_load_dwordx2 s[0:1], s[4:5], 0x84
	s_load_dwordx16 s[12:27], s[4:5], 0x8
	s_waitcnt lgkmcnt(0)
	s_lshr_b32 s2, s0, 16
	v_cmp_eq_f64_e64 s[10:11], s[12:13], 0
	s_and_b32 s0, s0, 0xffff
	s_and_b32 s1, s1, 0xffff
	s_mul_i32 s0, s2, s0
	s_mul_i32 s0, s0, s1
	s_cmpk_lg_i32 s0, 0x400
	s_cselect_b64 s[0:1], -1, 0
	s_mov_b64 s[2:3], 0
	s_or_b64 s[0:1], s[10:11], s[0:1]
	s_and_b64 vcc, exec, s[0:1]
	s_cbranch_vccnz .LBB3_5
; %bb.1:
	s_load_dwordx2 s[10:11], s[4:5], 0x0
	v_lshl_add_u32 v0, s6, 7, v0
	v_lshl_add_u32 v1, s7, 3, v1
	s_mov_b64 s[0:1], -1
	s_waitcnt lgkmcnt(0)
	s_bitcmp0_b32 s10, 0
	s_cbranch_scc1 .LBB3_6
; %bb.2:
	s_andn2_b64 vcc, exec, s[0:1]
	s_cbranch_vccz .LBB3_7
.LBB3_3:
	s_and_saveexec_b64 s[0:1], s[2:3]
	s_cbranch_execz .LBB3_5
.LBB3_4:
	s_load_dwordx2 s[0:1], s[4:5], 0x68
	s_load_dwordx8 s[36:43], s[4:5], 0x48
	v_ashrrev_i32_e32 v6, 31, v1
	v_mul_lo_u32 v9, s19, v1
	v_mul_lo_u32 v10, s18, v6
	s_waitcnt lgkmcnt(0)
	s_mul_i32 s1, s1, s8
	s_mul_hi_u32 s2, s0, s8
	s_mul_i32 s0, s0, s8
	s_add_i32 s1, s2, s1
	s_lshl_b64 s[0:1], s[0:1], 3
	s_add_u32 s2, s38, s0
	s_addc_u32 s3, s39, s1
	s_lshl_b64 s[0:1], s[42:43], 3
	s_add_u32 s2, s2, s0
	s_addc_u32 s3, s3, s1
	s_mul_i32 s0, s21, s8
	s_mul_hi_u32 s1, s20, s8
	s_add_i32 s1, s1, s0
	s_mul_i32 s0, s20, s8
	s_lshl_b64 s[0:1], s[0:1], 3
	s_add_u32 s4, s14, s0
	s_addc_u32 s5, s15, s1
	s_lshl_b64 s[0:1], s[16:17], 3
	s_add_u32 s4, s4, s0
	s_addc_u32 s5, s5, s1
	s_mul_i32 s0, s37, s8
	s_mul_hi_u32 s1, s36, s8
	s_add_i32 s1, s1, s0
	s_mul_i32 s0, s36, s8
	s_lshl_b64 s[0:1], s[0:1], 3
	s_add_u32 s6, s22, s0
	s_addc_u32 s7, s23, s1
	s_lshl_b64 s[0:1], s[24:25], 3
	s_add_u32 s6, s6, s0
	s_addc_u32 s7, s7, s1
	v_mad_u64_u32 v[4:5], s[0:1], s18, v1, 0
	v_mul_lo_u32 v7, s27, v1
	v_mul_lo_u32 v8, s26, v6
	v_mad_u64_u32 v[2:3], s[0:1], s26, v1, 0
	v_add3_u32 v5, v5, v10, v9
	v_lshlrev_b64 v[4:5], 3, v[4:5]
	v_add3_u32 v3, v3, v8, v7
	v_mov_b32_e32 v7, s5
	v_add_co_u32_e32 v4, vcc, s4, v4
	v_addc_co_u32_e32 v5, vcc, v7, v5, vcc
	v_mul_lo_u32 v17, s41, v1
	v_mul_lo_u32 v18, s40, v6
	v_mad_u64_u32 v[6:7], s[0:1], s40, v1, 0
	v_ashrrev_i32_e32 v1, 31, v0
	v_mul_lo_u32 v14, s27, v0
	v_mul_lo_u32 v15, s26, v1
	v_mad_u64_u32 v[10:11], s[0:1], s26, v0, 0
	v_mul_lo_u32 v12, s19, v0
	v_mul_lo_u32 v13, s18, v1
	v_mad_u64_u32 v[8:9], s[0:1], s18, v0, 0
	v_add3_u32 v11, v11, v15, v14
	v_lshlrev_b64 v[10:11], 3, v[10:11]
	v_add3_u32 v9, v9, v13, v12
	v_mov_b32_e32 v13, s7
	v_add_co_u32_e32 v10, vcc, s6, v10
	v_addc_co_u32_e32 v11, vcc, v13, v11, vcc
	global_load_dwordx2 v[10:11], v[10:11], off
	v_lshlrev_b64 v[8:9], 3, v[8:9]
	v_mov_b32_e32 v12, s5
	v_add_co_u32_e32 v8, vcc, s4, v8
	v_addc_co_u32_e32 v9, vcc, v12, v9, vcc
	global_load_dwordx2 v[12:13], v[8:9], off
	global_load_dwordx2 v[14:15], v[4:5], off
	v_lshlrev_b64 v[2:3], 3, v[2:3]
	v_mov_b32_e32 v16, s7
	v_add_co_u32_e32 v2, vcc, s6, v2
	v_addc_co_u32_e32 v3, vcc, v16, v3, vcc
	global_load_dwordx2 v[2:3], v[2:3], off
	v_add3_u32 v7, v7, v18, v17
	v_lshlrev_b64 v[4:5], 3, v[6:7]
	v_mov_b32_e32 v6, s3
	v_add_co_u32_e32 v4, vcc, s2, v4
	v_lshlrev_b64 v[0:1], 3, v[0:1]
	v_addc_co_u32_e32 v5, vcc, v6, v5, vcc
	v_add_co_u32_e32 v0, vcc, v4, v0
	v_addc_co_u32_e32 v1, vcc, v5, v1, vcc
	global_load_dwordx2 v[4:5], v[0:1], off
	s_waitcnt vmcnt(4)
	v_mul_f64 v[6:7], s[12:13], v[10:11]
	s_waitcnt vmcnt(3)
	v_mul_f64 v[8:9], s[12:13], v[12:13]
	;; [unrolled: 2-line block ×3, first 2 shown]
	s_waitcnt vmcnt(1)
	v_fma_f64 v[2:3], v[8:9], v[2:3], v[6:7]
	s_waitcnt vmcnt(0)
	v_add_f64 v[2:3], v[4:5], v[2:3]
	global_store_dwordx2 v[0:1], v[2:3], off
.LBB3_5:
	s_endpgm
.LBB3_6:
	v_cmp_gt_i32_e32 vcc, s11, v0
	v_cmp_le_i32_e64 s[0:1], v1, v0
	s_and_b64 s[2:3], s[0:1], vcc
	s_and_b64 s[2:3], s[2:3], exec
	s_cbranch_execnz .LBB3_3
.LBB3_7:
	v_cmp_gt_i32_e32 vcc, s11, v1
	v_cmp_le_i32_e64 s[0:1], v0, v1
	s_and_b64 s[0:1], s[0:1], vcc
	s_andn2_b64 s[2:3], s[2:3], exec
	s_and_b64 s[0:1], s[0:1], exec
	s_or_b64 s[2:3], s[2:3], s[0:1]
	s_and_saveexec_b64 s[0:1], s[2:3]
	s_cbranch_execnz .LBB3_4
	s_branch .LBB3_5
	.section	.rodata,"a",@progbits
	.p2align	6, 0x0
	.amdhsa_kernel _ZL19rocblas_syr2_kernelILi128ELi8ELi1EdPKdPdEvbiT2_T3_lllS4_lllT4_llli
		.amdhsa_group_segment_fixed_size 0
		.amdhsa_private_segment_fixed_size 0
		.amdhsa_kernarg_size 376
		.amdhsa_user_sgpr_count 6
		.amdhsa_user_sgpr_private_segment_buffer 1
		.amdhsa_user_sgpr_dispatch_ptr 0
		.amdhsa_user_sgpr_queue_ptr 0
		.amdhsa_user_sgpr_kernarg_segment_ptr 1
		.amdhsa_user_sgpr_dispatch_id 0
		.amdhsa_user_sgpr_flat_scratch_init 0
		.amdhsa_user_sgpr_private_segment_size 0
		.amdhsa_uses_dynamic_stack 0
		.amdhsa_system_sgpr_private_segment_wavefront_offset 0
		.amdhsa_system_sgpr_workgroup_id_x 1
		.amdhsa_system_sgpr_workgroup_id_y 1
		.amdhsa_system_sgpr_workgroup_id_z 1
		.amdhsa_system_sgpr_workgroup_info 0
		.amdhsa_system_vgpr_workitem_id 1
		.amdhsa_next_free_vgpr 19
		.amdhsa_next_free_sgpr 44
		.amdhsa_reserve_vcc 1
		.amdhsa_reserve_flat_scratch 0
		.amdhsa_float_round_mode_32 0
		.amdhsa_float_round_mode_16_64 0
		.amdhsa_float_denorm_mode_32 3
		.amdhsa_float_denorm_mode_16_64 3
		.amdhsa_dx10_clamp 1
		.amdhsa_ieee_mode 1
		.amdhsa_fp16_overflow 0
		.amdhsa_exception_fp_ieee_invalid_op 0
		.amdhsa_exception_fp_denorm_src 0
		.amdhsa_exception_fp_ieee_div_zero 0
		.amdhsa_exception_fp_ieee_overflow 0
		.amdhsa_exception_fp_ieee_underflow 0
		.amdhsa_exception_fp_ieee_inexact 0
		.amdhsa_exception_int_div_zero 0
	.end_amdhsa_kernel
	.section	.text._ZL19rocblas_syr2_kernelILi128ELi8ELi1EdPKdPdEvbiT2_T3_lllS4_lllT4_llli,"axG",@progbits,_ZL19rocblas_syr2_kernelILi128ELi8ELi1EdPKdPdEvbiT2_T3_lllS4_lllT4_llli,comdat
.Lfunc_end3:
	.size	_ZL19rocblas_syr2_kernelILi128ELi8ELi1EdPKdPdEvbiT2_T3_lllS4_lllT4_llli, .Lfunc_end3-_ZL19rocblas_syr2_kernelILi128ELi8ELi1EdPKdPdEvbiT2_T3_lllS4_lllT4_llli
                                        ; -- End function
	.set _ZL19rocblas_syr2_kernelILi128ELi8ELi1EdPKdPdEvbiT2_T3_lllS4_lllT4_llli.num_vgpr, 19
	.set _ZL19rocblas_syr2_kernelILi128ELi8ELi1EdPKdPdEvbiT2_T3_lllS4_lllT4_llli.num_agpr, 0
	.set _ZL19rocblas_syr2_kernelILi128ELi8ELi1EdPKdPdEvbiT2_T3_lllS4_lllT4_llli.numbered_sgpr, 44
	.set _ZL19rocblas_syr2_kernelILi128ELi8ELi1EdPKdPdEvbiT2_T3_lllS4_lllT4_llli.num_named_barrier, 0
	.set _ZL19rocblas_syr2_kernelILi128ELi8ELi1EdPKdPdEvbiT2_T3_lllS4_lllT4_llli.private_seg_size, 0
	.set _ZL19rocblas_syr2_kernelILi128ELi8ELi1EdPKdPdEvbiT2_T3_lllS4_lllT4_llli.uses_vcc, 1
	.set _ZL19rocblas_syr2_kernelILi128ELi8ELi1EdPKdPdEvbiT2_T3_lllS4_lllT4_llli.uses_flat_scratch, 0
	.set _ZL19rocblas_syr2_kernelILi128ELi8ELi1EdPKdPdEvbiT2_T3_lllS4_lllT4_llli.has_dyn_sized_stack, 0
	.set _ZL19rocblas_syr2_kernelILi128ELi8ELi1EdPKdPdEvbiT2_T3_lllS4_lllT4_llli.has_recursion, 0
	.set _ZL19rocblas_syr2_kernelILi128ELi8ELi1EdPKdPdEvbiT2_T3_lllS4_lllT4_llli.has_indirect_call, 0
	.section	.AMDGPU.csdata,"",@progbits
; Kernel info:
; codeLenInByte = 736
; TotalNumSgprs: 48
; NumVgprs: 19
; ScratchSize: 0
; MemoryBound: 0
; FloatMode: 240
; IeeeMode: 1
; LDSByteSize: 0 bytes/workgroup (compile time only)
; SGPRBlocks: 5
; VGPRBlocks: 4
; NumSGPRsForWavesPerEU: 48
; NumVGPRsForWavesPerEU: 19
; Occupancy: 10
; WaveLimiterHint : 0
; COMPUTE_PGM_RSRC2:SCRATCH_EN: 0
; COMPUTE_PGM_RSRC2:USER_SGPR: 6
; COMPUTE_PGM_RSRC2:TRAP_HANDLER: 0
; COMPUTE_PGM_RSRC2:TGID_X_EN: 1
; COMPUTE_PGM_RSRC2:TGID_Y_EN: 1
; COMPUTE_PGM_RSRC2:TGID_Z_EN: 1
; COMPUTE_PGM_RSRC2:TIDIG_COMP_CNT: 1
	.section	.text._ZL19rocblas_syr2_kernelILi128ELi8ELi1EPK19rocblas_complex_numIfES3_PS1_EvbiT2_T3_lllS6_lllT4_llli,"axG",@progbits,_ZL19rocblas_syr2_kernelILi128ELi8ELi1EPK19rocblas_complex_numIfES3_PS1_EvbiT2_T3_lllS6_lllT4_llli,comdat
	.globl	_ZL19rocblas_syr2_kernelILi128ELi8ELi1EPK19rocblas_complex_numIfES3_PS1_EvbiT2_T3_lllS6_lllT4_llli ; -- Begin function _ZL19rocblas_syr2_kernelILi128ELi8ELi1EPK19rocblas_complex_numIfES3_PS1_EvbiT2_T3_lllS6_lllT4_llli
	.p2align	8
	.type	_ZL19rocblas_syr2_kernelILi128ELi8ELi1EPK19rocblas_complex_numIfES3_PS1_EvbiT2_T3_lllS6_lllT4_llli,@function
_ZL19rocblas_syr2_kernelILi128ELi8ELi1EPK19rocblas_complex_numIfES3_PS1_EvbiT2_T3_lllS6_lllT4_llli: ; @_ZL19rocblas_syr2_kernelILi128ELi8ELi1EPK19rocblas_complex_numIfES3_PS1_EvbiT2_T3_lllS6_lllT4_llli
; %bb.0:
	s_load_dwordx2 s[0:1], s[4:5], 0x84
	s_waitcnt lgkmcnt(0)
	s_lshr_b32 s2, s0, 16
	s_and_b32 s0, s0, 0xffff
	s_and_b32 s1, s1, 0xffff
	s_mul_i32 s0, s2, s0
	s_mul_i32 s0, s0, s1
	s_cmpk_lg_i32 s0, 0x400
	s_cbranch_scc1 .LBB4_8
; %bb.1:
	s_load_dwordx16 s[12:27], s[4:5], 0x8
	s_waitcnt lgkmcnt(0)
	s_load_dwordx2 s[2:3], s[12:13], 0x0
	s_waitcnt lgkmcnt(0)
	v_cmp_neq_f32_e64 s[0:1], s2, 0
	v_cmp_neq_f32_e64 s[10:11], s3, 0
	s_or_b64 s[0:1], s[0:1], s[10:11]
	s_andn2_b64 vcc, exec, s[0:1]
	s_cbranch_vccnz .LBB4_8
; %bb.2:
	s_load_dwordx2 s[10:11], s[4:5], 0x0
	v_lshl_add_u32 v0, s6, 7, v0
	v_lshl_add_u32 v1, s7, 3, v1
	s_waitcnt lgkmcnt(0)
	s_bitcmp0_b32 s10, 0
	s_cbranch_scc0 .LBB4_4
; %bb.3:
	v_cmp_gt_i32_e32 vcc, s11, v0
	v_cmp_le_i32_e64 s[0:1], v1, v0
	s_and_b64 s[6:7], s[0:1], vcc
	s_and_b64 s[6:7], s[6:7], exec
	s_cbranch_execz .LBB4_5
	s_branch .LBB4_6
.LBB4_4:
	s_mov_b64 s[6:7], 0
.LBB4_5:
	v_cmp_gt_i32_e32 vcc, s11, v1
	v_cmp_le_i32_e64 s[0:1], v0, v1
	s_and_b64 s[0:1], s[0:1], vcc
	s_andn2_b64 s[6:7], s[6:7], exec
	s_and_b64 s[0:1], s[0:1], exec
	s_or_b64 s[6:7], s[6:7], s[0:1]
.LBB4_6:
	s_and_saveexec_b64 s[0:1], s[6:7]
	s_cbranch_execz .LBB4_8
; %bb.7:
	s_load_dwordx2 s[0:1], s[4:5], 0x68
	s_load_dwordx8 s[36:43], s[4:5], 0x48
	v_ashrrev_i32_e32 v6, 31, v1
	v_mul_lo_u32 v4, s27, v1
	v_mul_lo_u32 v5, s26, v6
	s_waitcnt lgkmcnt(0)
	s_mul_i32 s1, s1, s8
	s_mul_hi_u32 s4, s0, s8
	s_mul_i32 s0, s0, s8
	s_add_i32 s1, s4, s1
	s_lshl_b64 s[0:1], s[0:1], 3
	s_add_u32 s4, s38, s0
	s_addc_u32 s5, s39, s1
	s_lshl_b64 s[0:1], s[42:43], 3
	s_add_u32 s4, s4, s0
	s_addc_u32 s5, s5, s1
	s_mul_i32 s0, s21, s8
	s_mul_hi_u32 s1, s20, s8
	s_add_i32 s1, s1, s0
	s_mul_i32 s0, s20, s8
	s_lshl_b64 s[0:1], s[0:1], 3
	s_add_u32 s6, s14, s0
	s_addc_u32 s7, s15, s1
	s_lshl_b64 s[0:1], s[16:17], 3
	s_add_u32 s6, s6, s0
	s_addc_u32 s7, s7, s1
	s_mul_i32 s0, s37, s8
	s_mul_hi_u32 s1, s36, s8
	s_add_i32 s1, s1, s0
	s_mul_i32 s0, s36, s8
	s_lshl_b64 s[0:1], s[0:1], 3
	s_add_u32 s8, s22, s0
	s_addc_u32 s9, s23, s1
	v_mad_u64_u32 v[2:3], s[0:1], s26, v1, 0
	s_lshl_b64 s[0:1], s[24:25], 3
	s_add_u32 s8, s8, s0
	s_addc_u32 s9, s9, s1
	v_add3_u32 v3, v3, v5, v4
	v_mul_lo_u32 v8, s19, v1
	v_mul_lo_u32 v9, s18, v6
	v_mad_u64_u32 v[4:5], s[0:1], s18, v1, 0
	v_lshlrev_b64 v[2:3], 3, v[2:3]
	v_mov_b32_e32 v7, s9
	v_add3_u32 v5, v5, v9, v8
	v_add_co_u32_e32 v2, vcc, s8, v2
	v_lshlrev_b64 v[4:5], 3, v[4:5]
	v_addc_co_u32_e32 v3, vcc, v7, v3, vcc
	v_mov_b32_e32 v7, s7
	v_add_co_u32_e32 v4, vcc, s6, v4
	v_addc_co_u32_e32 v5, vcc, v7, v5, vcc
	v_mul_lo_u32 v10, s41, v1
	v_mul_lo_u32 v11, s40, v6
	v_mad_u64_u32 v[6:7], s[0:1], s40, v1, 0
	v_ashrrev_i32_e32 v1, 31, v0
	v_mul_lo_u32 v12, s19, v0
	v_mul_lo_u32 v13, s18, v1
	v_mad_u64_u32 v[8:9], s[0:1], s18, v0, 0
	v_add3_u32 v7, v7, v11, v10
	v_mul_lo_u32 v17, s27, v0
	v_add3_u32 v9, v9, v13, v12
	v_mul_lo_u32 v18, s26, v1
	v_mad_u64_u32 v[10:11], s[0:1], s26, v0, 0
	v_lshlrev_b64 v[8:9], 3, v[8:9]
	v_mov_b32_e32 v12, s7
	v_add_co_u32_e32 v8, vcc, s6, v8
	v_addc_co_u32_e32 v9, vcc, v12, v9, vcc
	v_add3_u32 v11, v11, v18, v17
	global_load_dwordx2 v[12:13], v[8:9], off
	global_load_dwordx2 v[14:15], v[2:3], off
	v_lshlrev_b64 v[2:3], 3, v[10:11]
	v_mov_b32_e32 v8, s9
	v_add_co_u32_e32 v2, vcc, s8, v2
	v_lshlrev_b64 v[6:7], 3, v[6:7]
	v_addc_co_u32_e32 v3, vcc, v8, v3, vcc
	global_load_dwordx2 v[2:3], v[2:3], off
	v_mov_b32_e32 v16, s5
	v_add_co_u32_e32 v6, vcc, s4, v6
	v_lshlrev_b64 v[0:1], 3, v[0:1]
	v_addc_co_u32_e32 v7, vcc, v16, v7, vcc
	global_load_dwordx2 v[4:5], v[4:5], off
	v_add_co_u32_e32 v0, vcc, v6, v0
	v_addc_co_u32_e32 v1, vcc, v7, v1, vcc
	global_load_dwordx2 v[6:7], v[0:1], off
	s_waitcnt vmcnt(4)
	v_mul_f32_e32 v9, s2, v13
	v_mul_f32_e32 v8, s3, v13
	v_fmac_f32_e32 v9, s3, v12
	v_fma_f32 v8, s2, v12, -v8
	s_waitcnt vmcnt(3)
	v_mul_f32_e32 v10, v15, v9
	v_mul_f32_e32 v9, v14, v9
	v_fma_f32 v10, v14, v8, -v10
	v_fmac_f32_e32 v9, v15, v8
	s_waitcnt vmcnt(2)
	v_mul_f32_e32 v8, s3, v3
	v_mul_f32_e32 v3, s2, v3
	v_fmac_f32_e32 v3, s3, v2
	v_fma_f32 v8, s2, v2, -v8
	s_waitcnt vmcnt(1)
	v_mul_f32_e32 v2, v5, v3
	v_mul_f32_e32 v3, v4, v3
	v_fma_f32 v2, v4, v8, -v2
	v_fmac_f32_e32 v3, v5, v8
	v_add_f32_e32 v2, v10, v2
	v_add_f32_e32 v3, v9, v3
	s_waitcnt vmcnt(0)
	v_add_f32_e32 v2, v6, v2
	v_add_f32_e32 v3, v7, v3
	global_store_dwordx2 v[0:1], v[2:3], off
.LBB4_8:
	s_endpgm
	.section	.rodata,"a",@progbits
	.p2align	6, 0x0
	.amdhsa_kernel _ZL19rocblas_syr2_kernelILi128ELi8ELi1EPK19rocblas_complex_numIfES3_PS1_EvbiT2_T3_lllS6_lllT4_llli
		.amdhsa_group_segment_fixed_size 0
		.amdhsa_private_segment_fixed_size 0
		.amdhsa_kernarg_size 376
		.amdhsa_user_sgpr_count 6
		.amdhsa_user_sgpr_private_segment_buffer 1
		.amdhsa_user_sgpr_dispatch_ptr 0
		.amdhsa_user_sgpr_queue_ptr 0
		.amdhsa_user_sgpr_kernarg_segment_ptr 1
		.amdhsa_user_sgpr_dispatch_id 0
		.amdhsa_user_sgpr_flat_scratch_init 0
		.amdhsa_user_sgpr_private_segment_size 0
		.amdhsa_uses_dynamic_stack 0
		.amdhsa_system_sgpr_private_segment_wavefront_offset 0
		.amdhsa_system_sgpr_workgroup_id_x 1
		.amdhsa_system_sgpr_workgroup_id_y 1
		.amdhsa_system_sgpr_workgroup_id_z 1
		.amdhsa_system_sgpr_workgroup_info 0
		.amdhsa_system_vgpr_workitem_id 1
		.amdhsa_next_free_vgpr 19
		.amdhsa_next_free_sgpr 44
		.amdhsa_reserve_vcc 1
		.amdhsa_reserve_flat_scratch 0
		.amdhsa_float_round_mode_32 0
		.amdhsa_float_round_mode_16_64 0
		.amdhsa_float_denorm_mode_32 3
		.amdhsa_float_denorm_mode_16_64 3
		.amdhsa_dx10_clamp 1
		.amdhsa_ieee_mode 1
		.amdhsa_fp16_overflow 0
		.amdhsa_exception_fp_ieee_invalid_op 0
		.amdhsa_exception_fp_denorm_src 0
		.amdhsa_exception_fp_ieee_div_zero 0
		.amdhsa_exception_fp_ieee_overflow 0
		.amdhsa_exception_fp_ieee_underflow 0
		.amdhsa_exception_fp_ieee_inexact 0
		.amdhsa_exception_int_div_zero 0
	.end_amdhsa_kernel
	.section	.text._ZL19rocblas_syr2_kernelILi128ELi8ELi1EPK19rocblas_complex_numIfES3_PS1_EvbiT2_T3_lllS6_lllT4_llli,"axG",@progbits,_ZL19rocblas_syr2_kernelILi128ELi8ELi1EPK19rocblas_complex_numIfES3_PS1_EvbiT2_T3_lllS6_lllT4_llli,comdat
.Lfunc_end4:
	.size	_ZL19rocblas_syr2_kernelILi128ELi8ELi1EPK19rocblas_complex_numIfES3_PS1_EvbiT2_T3_lllS6_lllT4_llli, .Lfunc_end4-_ZL19rocblas_syr2_kernelILi128ELi8ELi1EPK19rocblas_complex_numIfES3_PS1_EvbiT2_T3_lllS6_lllT4_llli
                                        ; -- End function
	.set _ZL19rocblas_syr2_kernelILi128ELi8ELi1EPK19rocblas_complex_numIfES3_PS1_EvbiT2_T3_lllS6_lllT4_llli.num_vgpr, 19
	.set _ZL19rocblas_syr2_kernelILi128ELi8ELi1EPK19rocblas_complex_numIfES3_PS1_EvbiT2_T3_lllS6_lllT4_llli.num_agpr, 0
	.set _ZL19rocblas_syr2_kernelILi128ELi8ELi1EPK19rocblas_complex_numIfES3_PS1_EvbiT2_T3_lllS6_lllT4_llli.numbered_sgpr, 44
	.set _ZL19rocblas_syr2_kernelILi128ELi8ELi1EPK19rocblas_complex_numIfES3_PS1_EvbiT2_T3_lllS6_lllT4_llli.num_named_barrier, 0
	.set _ZL19rocblas_syr2_kernelILi128ELi8ELi1EPK19rocblas_complex_numIfES3_PS1_EvbiT2_T3_lllS6_lllT4_llli.private_seg_size, 0
	.set _ZL19rocblas_syr2_kernelILi128ELi8ELi1EPK19rocblas_complex_numIfES3_PS1_EvbiT2_T3_lllS6_lllT4_llli.uses_vcc, 1
	.set _ZL19rocblas_syr2_kernelILi128ELi8ELi1EPK19rocblas_complex_numIfES3_PS1_EvbiT2_T3_lllS6_lllT4_llli.uses_flat_scratch, 0
	.set _ZL19rocblas_syr2_kernelILi128ELi8ELi1EPK19rocblas_complex_numIfES3_PS1_EvbiT2_T3_lllS6_lllT4_llli.has_dyn_sized_stack, 0
	.set _ZL19rocblas_syr2_kernelILi128ELi8ELi1EPK19rocblas_complex_numIfES3_PS1_EvbiT2_T3_lllS6_lllT4_llli.has_recursion, 0
	.set _ZL19rocblas_syr2_kernelILi128ELi8ELi1EPK19rocblas_complex_numIfES3_PS1_EvbiT2_T3_lllS6_lllT4_llli.has_indirect_call, 0
	.section	.AMDGPU.csdata,"",@progbits
; Kernel info:
; codeLenInByte = 796
; TotalNumSgprs: 48
; NumVgprs: 19
; ScratchSize: 0
; MemoryBound: 0
; FloatMode: 240
; IeeeMode: 1
; LDSByteSize: 0 bytes/workgroup (compile time only)
; SGPRBlocks: 5
; VGPRBlocks: 4
; NumSGPRsForWavesPerEU: 48
; NumVGPRsForWavesPerEU: 19
; Occupancy: 10
; WaveLimiterHint : 0
; COMPUTE_PGM_RSRC2:SCRATCH_EN: 0
; COMPUTE_PGM_RSRC2:USER_SGPR: 6
; COMPUTE_PGM_RSRC2:TRAP_HANDLER: 0
; COMPUTE_PGM_RSRC2:TGID_X_EN: 1
; COMPUTE_PGM_RSRC2:TGID_Y_EN: 1
; COMPUTE_PGM_RSRC2:TGID_Z_EN: 1
; COMPUTE_PGM_RSRC2:TIDIG_COMP_CNT: 1
	.section	.text._ZL19rocblas_syr2_kernelILi128ELi8ELi1E19rocblas_complex_numIfEPKS1_PS1_EvbiT2_T3_lllS6_lllT4_llli,"axG",@progbits,_ZL19rocblas_syr2_kernelILi128ELi8ELi1E19rocblas_complex_numIfEPKS1_PS1_EvbiT2_T3_lllS6_lllT4_llli,comdat
	.globl	_ZL19rocblas_syr2_kernelILi128ELi8ELi1E19rocblas_complex_numIfEPKS1_PS1_EvbiT2_T3_lllS6_lllT4_llli ; -- Begin function _ZL19rocblas_syr2_kernelILi128ELi8ELi1E19rocblas_complex_numIfEPKS1_PS1_EvbiT2_T3_lllS6_lllT4_llli
	.p2align	8
	.type	_ZL19rocblas_syr2_kernelILi128ELi8ELi1E19rocblas_complex_numIfEPKS1_PS1_EvbiT2_T3_lllS6_lllT4_llli,@function
_ZL19rocblas_syr2_kernelILi128ELi8ELi1E19rocblas_complex_numIfEPKS1_PS1_EvbiT2_T3_lllS6_lllT4_llli: ; @_ZL19rocblas_syr2_kernelILi128ELi8ELi1E19rocblas_complex_numIfEPKS1_PS1_EvbiT2_T3_lllS6_lllT4_llli
; %bb.0:
	s_load_dwordx2 s[0:1], s[4:5], 0x84
	s_waitcnt lgkmcnt(0)
	s_lshr_b32 s2, s0, 16
	s_and_b32 s0, s0, 0xffff
	s_and_b32 s1, s1, 0xffff
	s_mul_i32 s0, s2, s0
	s_mul_i32 s0, s0, s1
	s_cmpk_lg_i32 s0, 0x400
	s_cbranch_scc1 .LBB5_8
; %bb.1:
	s_load_dwordx2 s[2:3], s[4:5], 0x8
	s_waitcnt lgkmcnt(0)
	v_cmp_neq_f32_e64 s[0:1], s2, 0
	v_cmp_neq_f32_e64 s[10:11], s3, 0
	s_or_b64 s[0:1], s[0:1], s[10:11]
	s_andn2_b64 vcc, exec, s[0:1]
	s_cbranch_vccnz .LBB5_8
; %bb.2:
	s_load_dwordx2 s[10:11], s[4:5], 0x0
	v_lshl_add_u32 v0, s6, 7, v0
	v_lshl_add_u32 v1, s7, 3, v1
	s_waitcnt lgkmcnt(0)
	s_bitcmp0_b32 s10, 0
	s_cbranch_scc0 .LBB5_4
; %bb.3:
	v_cmp_gt_i32_e32 vcc, s11, v0
	v_cmp_le_i32_e64 s[0:1], v1, v0
	s_and_b64 s[6:7], s[0:1], vcc
	s_and_b64 s[6:7], s[6:7], exec
	s_cbranch_execz .LBB5_5
	s_branch .LBB5_6
.LBB5_4:
	s_mov_b64 s[6:7], 0
.LBB5_5:
	v_cmp_gt_i32_e32 vcc, s11, v1
	v_cmp_le_i32_e64 s[0:1], v0, v1
	s_and_b64 s[0:1], s[0:1], vcc
	s_andn2_b64 s[6:7], s[6:7], exec
	s_and_b64 s[0:1], s[0:1], exec
	s_or_b64 s[6:7], s[6:7], s[0:1]
.LBB5_6:
	s_and_saveexec_b64 s[0:1], s[6:7]
	s_cbranch_execz .LBB5_8
; %bb.7:
	s_load_dwordx8 s[36:43], s[4:5], 0x50
	s_load_dwordx16 s[12:27], s[4:5], 0x10
	v_ashrrev_i32_e32 v6, 31, v1
	s_waitcnt lgkmcnt(0)
	s_mul_i32 s1, s43, s8
	s_mul_hi_u32 s4, s42, s8
	s_mul_i32 s0, s42, s8
	s_add_i32 s1, s4, s1
	s_lshl_b64 s[0:1], s[0:1], 3
	s_add_u32 s4, s36, s0
	s_addc_u32 s5, s37, s1
	s_lshl_b64 s[0:1], s[40:41], 3
	s_add_u32 s4, s4, s0
	s_addc_u32 s5, s5, s1
	s_mul_i32 s0, s19, s8
	s_mul_hi_u32 s1, s18, s8
	s_add_i32 s1, s1, s0
	s_mul_i32 s0, s18, s8
	s_lshl_b64 s[0:1], s[0:1], 3
	s_add_u32 s6, s12, s0
	s_addc_u32 s7, s13, s1
	s_lshl_b64 s[0:1], s[14:15], 3
	s_add_u32 s6, s6, s0
	s_addc_u32 s7, s7, s1
	s_mul_i32 s0, s27, s8
	s_mul_hi_u32 s1, s26, s8
	s_add_i32 s1, s1, s0
	s_mul_i32 s0, s26, s8
	s_lshl_b64 s[0:1], s[0:1], 3
	s_add_u32 s8, s20, s0
	s_addc_u32 s9, s21, s1
	v_mul_lo_u32 v4, s25, v1
	v_mul_lo_u32 v5, s24, v6
	v_mad_u64_u32 v[2:3], s[0:1], s24, v1, 0
	s_lshl_b64 s[0:1], s[22:23], 3
	s_add_u32 s8, s8, s0
	s_addc_u32 s9, s9, s1
	v_add3_u32 v3, v3, v5, v4
	v_mul_lo_u32 v8, s17, v1
	v_mul_lo_u32 v9, s16, v6
	v_mad_u64_u32 v[4:5], s[0:1], s16, v1, 0
	v_lshlrev_b64 v[2:3], 3, v[2:3]
	v_mov_b32_e32 v7, s9
	v_add3_u32 v5, v5, v9, v8
	v_add_co_u32_e32 v2, vcc, s8, v2
	v_lshlrev_b64 v[4:5], 3, v[4:5]
	v_addc_co_u32_e32 v3, vcc, v7, v3, vcc
	v_mov_b32_e32 v7, s7
	v_add_co_u32_e32 v4, vcc, s6, v4
	v_addc_co_u32_e32 v5, vcc, v7, v5, vcc
	v_mul_lo_u32 v10, s39, v1
	v_mul_lo_u32 v11, s38, v6
	v_mad_u64_u32 v[6:7], s[0:1], s38, v1, 0
	v_ashrrev_i32_e32 v1, 31, v0
	v_mul_lo_u32 v12, s17, v0
	v_mul_lo_u32 v13, s16, v1
	v_mad_u64_u32 v[8:9], s[0:1], s16, v0, 0
	v_add3_u32 v7, v7, v11, v10
	v_mul_lo_u32 v17, s25, v0
	v_add3_u32 v9, v9, v13, v12
	v_mul_lo_u32 v18, s24, v1
	v_mad_u64_u32 v[10:11], s[0:1], s24, v0, 0
	v_lshlrev_b64 v[8:9], 3, v[8:9]
	v_mov_b32_e32 v12, s7
	v_add_co_u32_e32 v8, vcc, s6, v8
	v_addc_co_u32_e32 v9, vcc, v12, v9, vcc
	v_add3_u32 v11, v11, v18, v17
	global_load_dwordx2 v[12:13], v[8:9], off
	global_load_dwordx2 v[14:15], v[2:3], off
	v_lshlrev_b64 v[2:3], 3, v[10:11]
	v_mov_b32_e32 v8, s9
	v_add_co_u32_e32 v2, vcc, s8, v2
	v_lshlrev_b64 v[6:7], 3, v[6:7]
	v_addc_co_u32_e32 v3, vcc, v8, v3, vcc
	global_load_dwordx2 v[2:3], v[2:3], off
	v_mov_b32_e32 v16, s5
	v_add_co_u32_e32 v6, vcc, s4, v6
	v_lshlrev_b64 v[0:1], 3, v[0:1]
	v_addc_co_u32_e32 v7, vcc, v16, v7, vcc
	global_load_dwordx2 v[4:5], v[4:5], off
	v_add_co_u32_e32 v0, vcc, v6, v0
	v_addc_co_u32_e32 v1, vcc, v7, v1, vcc
	global_load_dwordx2 v[6:7], v[0:1], off
	s_waitcnt vmcnt(4)
	v_mul_f32_e32 v9, s2, v13
	v_mul_f32_e32 v8, s3, v13
	v_fmac_f32_e32 v9, s3, v12
	v_fma_f32 v8, s2, v12, -v8
	s_waitcnt vmcnt(3)
	v_mul_f32_e32 v10, v15, v9
	v_mul_f32_e32 v9, v14, v9
	v_fma_f32 v10, v14, v8, -v10
	v_fmac_f32_e32 v9, v15, v8
	s_waitcnt vmcnt(2)
	v_mul_f32_e32 v8, s3, v3
	v_mul_f32_e32 v3, s2, v3
	v_fmac_f32_e32 v3, s3, v2
	v_fma_f32 v8, s2, v2, -v8
	s_waitcnt vmcnt(1)
	v_mul_f32_e32 v2, v5, v3
	v_mul_f32_e32 v3, v4, v3
	v_fma_f32 v2, v4, v8, -v2
	v_fmac_f32_e32 v3, v5, v8
	v_add_f32_e32 v2, v10, v2
	v_add_f32_e32 v3, v9, v3
	s_waitcnt vmcnt(0)
	v_add_f32_e32 v2, v6, v2
	v_add_f32_e32 v3, v7, v3
	global_store_dwordx2 v[0:1], v[2:3], off
.LBB5_8:
	s_endpgm
	.section	.rodata,"a",@progbits
	.p2align	6, 0x0
	.amdhsa_kernel _ZL19rocblas_syr2_kernelILi128ELi8ELi1E19rocblas_complex_numIfEPKS1_PS1_EvbiT2_T3_lllS6_lllT4_llli
		.amdhsa_group_segment_fixed_size 0
		.amdhsa_private_segment_fixed_size 0
		.amdhsa_kernarg_size 376
		.amdhsa_user_sgpr_count 6
		.amdhsa_user_sgpr_private_segment_buffer 1
		.amdhsa_user_sgpr_dispatch_ptr 0
		.amdhsa_user_sgpr_queue_ptr 0
		.amdhsa_user_sgpr_kernarg_segment_ptr 1
		.amdhsa_user_sgpr_dispatch_id 0
		.amdhsa_user_sgpr_flat_scratch_init 0
		.amdhsa_user_sgpr_private_segment_size 0
		.amdhsa_uses_dynamic_stack 0
		.amdhsa_system_sgpr_private_segment_wavefront_offset 0
		.amdhsa_system_sgpr_workgroup_id_x 1
		.amdhsa_system_sgpr_workgroup_id_y 1
		.amdhsa_system_sgpr_workgroup_id_z 1
		.amdhsa_system_sgpr_workgroup_info 0
		.amdhsa_system_vgpr_workitem_id 1
		.amdhsa_next_free_vgpr 19
		.amdhsa_next_free_sgpr 44
		.amdhsa_reserve_vcc 1
		.amdhsa_reserve_flat_scratch 0
		.amdhsa_float_round_mode_32 0
		.amdhsa_float_round_mode_16_64 0
		.amdhsa_float_denorm_mode_32 3
		.amdhsa_float_denorm_mode_16_64 3
		.amdhsa_dx10_clamp 1
		.amdhsa_ieee_mode 1
		.amdhsa_fp16_overflow 0
		.amdhsa_exception_fp_ieee_invalid_op 0
		.amdhsa_exception_fp_denorm_src 0
		.amdhsa_exception_fp_ieee_div_zero 0
		.amdhsa_exception_fp_ieee_overflow 0
		.amdhsa_exception_fp_ieee_underflow 0
		.amdhsa_exception_fp_ieee_inexact 0
		.amdhsa_exception_int_div_zero 0
	.end_amdhsa_kernel
	.section	.text._ZL19rocblas_syr2_kernelILi128ELi8ELi1E19rocblas_complex_numIfEPKS1_PS1_EvbiT2_T3_lllS6_lllT4_llli,"axG",@progbits,_ZL19rocblas_syr2_kernelILi128ELi8ELi1E19rocblas_complex_numIfEPKS1_PS1_EvbiT2_T3_lllS6_lllT4_llli,comdat
.Lfunc_end5:
	.size	_ZL19rocblas_syr2_kernelILi128ELi8ELi1E19rocblas_complex_numIfEPKS1_PS1_EvbiT2_T3_lllS6_lllT4_llli, .Lfunc_end5-_ZL19rocblas_syr2_kernelILi128ELi8ELi1E19rocblas_complex_numIfEPKS1_PS1_EvbiT2_T3_lllS6_lllT4_llli
                                        ; -- End function
	.set _ZL19rocblas_syr2_kernelILi128ELi8ELi1E19rocblas_complex_numIfEPKS1_PS1_EvbiT2_T3_lllS6_lllT4_llli.num_vgpr, 19
	.set _ZL19rocblas_syr2_kernelILi128ELi8ELi1E19rocblas_complex_numIfEPKS1_PS1_EvbiT2_T3_lllS6_lllT4_llli.num_agpr, 0
	.set _ZL19rocblas_syr2_kernelILi128ELi8ELi1E19rocblas_complex_numIfEPKS1_PS1_EvbiT2_T3_lllS6_lllT4_llli.numbered_sgpr, 44
	.set _ZL19rocblas_syr2_kernelILi128ELi8ELi1E19rocblas_complex_numIfEPKS1_PS1_EvbiT2_T3_lllS6_lllT4_llli.num_named_barrier, 0
	.set _ZL19rocblas_syr2_kernelILi128ELi8ELi1E19rocblas_complex_numIfEPKS1_PS1_EvbiT2_T3_lllS6_lllT4_llli.private_seg_size, 0
	.set _ZL19rocblas_syr2_kernelILi128ELi8ELi1E19rocblas_complex_numIfEPKS1_PS1_EvbiT2_T3_lllS6_lllT4_llli.uses_vcc, 1
	.set _ZL19rocblas_syr2_kernelILi128ELi8ELi1E19rocblas_complex_numIfEPKS1_PS1_EvbiT2_T3_lllS6_lllT4_llli.uses_flat_scratch, 0
	.set _ZL19rocblas_syr2_kernelILi128ELi8ELi1E19rocblas_complex_numIfEPKS1_PS1_EvbiT2_T3_lllS6_lllT4_llli.has_dyn_sized_stack, 0
	.set _ZL19rocblas_syr2_kernelILi128ELi8ELi1E19rocblas_complex_numIfEPKS1_PS1_EvbiT2_T3_lllS6_lllT4_llli.has_recursion, 0
	.set _ZL19rocblas_syr2_kernelILi128ELi8ELi1E19rocblas_complex_numIfEPKS1_PS1_EvbiT2_T3_lllS6_lllT4_llli.has_indirect_call, 0
	.section	.AMDGPU.csdata,"",@progbits
; Kernel info:
; codeLenInByte = 784
; TotalNumSgprs: 48
; NumVgprs: 19
; ScratchSize: 0
; MemoryBound: 0
; FloatMode: 240
; IeeeMode: 1
; LDSByteSize: 0 bytes/workgroup (compile time only)
; SGPRBlocks: 5
; VGPRBlocks: 4
; NumSGPRsForWavesPerEU: 48
; NumVGPRsForWavesPerEU: 19
; Occupancy: 10
; WaveLimiterHint : 0
; COMPUTE_PGM_RSRC2:SCRATCH_EN: 0
; COMPUTE_PGM_RSRC2:USER_SGPR: 6
; COMPUTE_PGM_RSRC2:TRAP_HANDLER: 0
; COMPUTE_PGM_RSRC2:TGID_X_EN: 1
; COMPUTE_PGM_RSRC2:TGID_Y_EN: 1
; COMPUTE_PGM_RSRC2:TGID_Z_EN: 1
; COMPUTE_PGM_RSRC2:TIDIG_COMP_CNT: 1
	.section	.text._ZL19rocblas_syr2_kernelILi128ELi8ELi1EPK19rocblas_complex_numIdES3_PS1_EvbiT2_T3_lllS6_lllT4_llli,"axG",@progbits,_ZL19rocblas_syr2_kernelILi128ELi8ELi1EPK19rocblas_complex_numIdES3_PS1_EvbiT2_T3_lllS6_lllT4_llli,comdat
	.globl	_ZL19rocblas_syr2_kernelILi128ELi8ELi1EPK19rocblas_complex_numIdES3_PS1_EvbiT2_T3_lllS6_lllT4_llli ; -- Begin function _ZL19rocblas_syr2_kernelILi128ELi8ELi1EPK19rocblas_complex_numIdES3_PS1_EvbiT2_T3_lllS6_lllT4_llli
	.p2align	8
	.type	_ZL19rocblas_syr2_kernelILi128ELi8ELi1EPK19rocblas_complex_numIdES3_PS1_EvbiT2_T3_lllS6_lllT4_llli,@function
_ZL19rocblas_syr2_kernelILi128ELi8ELi1EPK19rocblas_complex_numIdES3_PS1_EvbiT2_T3_lllS6_lllT4_llli: ; @_ZL19rocblas_syr2_kernelILi128ELi8ELi1EPK19rocblas_complex_numIdES3_PS1_EvbiT2_T3_lllS6_lllT4_llli
; %bb.0:
	s_load_dwordx2 s[0:1], s[4:5], 0x84
	s_waitcnt lgkmcnt(0)
	s_lshr_b32 s2, s0, 16
	s_and_b32 s0, s0, 0xffff
	s_and_b32 s1, s1, 0xffff
	s_mul_i32 s0, s2, s0
	s_mul_i32 s0, s0, s1
	s_cmpk_lg_i32 s0, 0x400
	s_cbranch_scc1 .LBB6_6
; %bb.1:
	s_load_dwordx16 s[12:27], s[4:5], 0x8
	s_waitcnt lgkmcnt(0)
	s_load_dwordx4 s[28:31], s[12:13], 0x0
	s_waitcnt lgkmcnt(0)
	v_cmp_neq_f64_e64 s[0:1], s[28:29], 0
	v_cmp_neq_f64_e64 s[2:3], s[30:31], 0
	s_or_b64 s[0:1], s[0:1], s[2:3]
	s_andn2_b64 vcc, exec, s[0:1]
	s_mov_b64 s[2:3], 0
	s_cbranch_vccnz .LBB6_6
; %bb.2:
	s_load_dwordx2 s[10:11], s[4:5], 0x0
	v_lshl_add_u32 v0, s6, 7, v0
	v_lshl_add_u32 v2, s7, 3, v1
	s_mov_b64 s[0:1], -1
	s_waitcnt lgkmcnt(0)
	s_bitcmp0_b32 s10, 0
	s_cbranch_scc1 .LBB6_7
; %bb.3:
	s_andn2_b64 vcc, exec, s[0:1]
	s_cbranch_vccz .LBB6_8
.LBB6_4:
	s_and_saveexec_b64 s[0:1], s[2:3]
	s_cbranch_execz .LBB6_6
.LBB6_5:
	s_load_dwordx2 s[0:1], s[4:5], 0x68
	s_load_dwordx8 s[36:43], s[4:5], 0x48
	v_ashrrev_i32_e32 v1, 31, v0
	v_mul_lo_u32 v5, s19, v0
	v_mul_lo_u32 v6, s18, v1
	s_waitcnt lgkmcnt(0)
	s_mul_i32 s1, s1, s8
	s_mul_hi_u32 s2, s0, s8
	s_mul_i32 s0, s0, s8
	s_add_i32 s1, s2, s1
	s_lshl_b64 s[0:1], s[0:1], 4
	s_add_u32 s2, s38, s0
	s_addc_u32 s3, s39, s1
	s_lshl_b64 s[0:1], s[42:43], 4
	s_add_u32 s4, s2, s0
	s_addc_u32 s5, s3, s1
	s_mul_i32 s0, s21, s8
	s_mul_hi_u32 s1, s20, s8
	s_add_i32 s1, s1, s0
	s_mul_i32 s0, s20, s8
	s_lshl_b64 s[0:1], s[0:1], 4
	s_add_u32 s2, s14, s0
	s_addc_u32 s3, s15, s1
	s_lshl_b64 s[0:1], s[16:17], 4
	s_add_u32 s6, s2, s0
	s_addc_u32 s7, s3, s1
	v_mad_u64_u32 v[3:4], s[2:3], s18, v0, 0
	s_mul_i32 s0, s37, s8
	s_mul_hi_u32 s1, s36, s8
	v_add3_u32 v4, v4, v6, v5
	v_lshlrev_b64 v[3:4], 4, v[3:4]
	v_mov_b32_e32 v5, s7
	v_add_co_u32_e32 v3, vcc, s6, v3
	v_addc_co_u32_e32 v4, vcc, v5, v4, vcc
	v_mul_lo_u32 v9, s27, v0
	v_mul_lo_u32 v10, s26, v1
	v_mad_u64_u32 v[7:8], s[2:3], s26, v0, 0
	s_add_i32 s1, s1, s0
	s_mul_i32 s0, s36, s8
	global_load_dwordx4 v[3:6], v[3:4], off
	s_lshl_b64 s[0:1], s[0:1], 4
	s_add_u32 s8, s22, s0
	s_addc_u32 s9, s23, s1
	s_lshl_b64 s[0:1], s[24:25], 4
	v_add3_u32 v8, v8, v10, v9
	s_add_u32 s2, s8, s0
	v_lshlrev_b64 v[7:8], 4, v[7:8]
	s_addc_u32 s3, s9, s1
	v_mov_b32_e32 v9, s3
	v_add_co_u32_e32 v7, vcc, s2, v7
	v_addc_co_u32_e32 v8, vcc, v9, v8, vcc
	global_load_dwordx4 v[7:10], v[7:8], off
	v_ashrrev_i32_e32 v15, 31, v2
	v_mul_lo_u32 v16, s27, v2
	v_mad_u64_u32 v[11:12], s[0:1], s26, v2, 0
	v_mul_lo_u32 v18, s26, v15
	v_mul_lo_u32 v17, s19, v2
	v_mad_u64_u32 v[13:14], s[0:1], s18, v2, 0
	v_mul_lo_u32 v19, s18, v15
	v_add3_u32 v12, v12, v18, v16
	v_mul_lo_u32 v20, s41, v2
	v_mul_lo_u32 v21, s40, v15
	v_mad_u64_u32 v[15:16], s[0:1], s40, v2, 0
	v_add3_u32 v14, v14, v19, v17
	v_lshlrev_b64 v[17:18], 4, v[11:12]
	v_add3_u32 v16, v16, v21, v20
	v_lshlrev_b64 v[11:12], 4, v[13:14]
	v_lshlrev_b64 v[13:14], 4, v[15:16]
	;; [unrolled: 1-line block ×3, first 2 shown]
	v_mov_b32_e32 v2, s5
	v_add_co_u32_e32 v13, vcc, s4, v13
	v_addc_co_u32_e32 v2, vcc, v2, v14, vcc
	v_add_co_u32_e32 v15, vcc, v13, v0
	v_addc_co_u32_e32 v16, vcc, v2, v1, vcc
	v_mov_b32_e32 v1, s7
	v_add_co_u32_e32 v0, vcc, s6, v11
	v_addc_co_u32_e32 v1, vcc, v1, v12, vcc
	global_load_dwordx4 v[11:14], v[0:1], off
	v_mov_b32_e32 v1, s3
	v_add_co_u32_e32 v0, vcc, s2, v17
	v_addc_co_u32_e32 v1, vcc, v1, v18, vcc
	s_waitcnt vmcnt(2)
	v_mul_f64 v[17:18], s[30:31], v[5:6]
	v_mul_f64 v[5:6], s[28:29], v[5:6]
	v_fma_f64 v[17:18], s[28:29], v[3:4], -v[17:18]
	v_fma_f64 v[4:5], s[30:31], v[3:4], v[5:6]
	s_waitcnt vmcnt(1)
	v_mul_f64 v[2:3], s[30:31], v[9:10]
	v_mul_f64 v[9:10], s[28:29], v[9:10]
	v_fma_f64 v[19:20], s[28:29], v[7:8], -v[2:3]
	global_load_dwordx4 v[0:3], v[0:1], off
	v_fma_f64 v[6:7], s[30:31], v[7:8], v[9:10]
	s_waitcnt vmcnt(0)
	v_mul_f64 v[8:9], v[2:3], v[4:5]
	v_mul_f64 v[4:5], v[0:1], v[4:5]
	v_fma_f64 v[8:9], v[0:1], v[17:18], -v[8:9]
	v_fma_f64 v[4:5], v[2:3], v[17:18], v[4:5]
	global_load_dwordx4 v[0:3], v[15:16], off
	v_mul_f64 v[17:18], v[13:14], v[6:7]
	v_mul_f64 v[6:7], v[11:12], v[6:7]
	v_fma_f64 v[10:11], v[11:12], v[19:20], -v[17:18]
	v_fma_f64 v[6:7], v[13:14], v[19:20], v[6:7]
	v_add_f64 v[8:9], v[8:9], v[10:11]
	v_add_f64 v[4:5], v[4:5], v[6:7]
	s_waitcnt vmcnt(0)
	v_add_f64 v[0:1], v[0:1], v[8:9]
	v_add_f64 v[2:3], v[2:3], v[4:5]
	global_store_dwordx4 v[15:16], v[0:3], off
.LBB6_6:
	s_endpgm
.LBB6_7:
	v_cmp_gt_i32_e32 vcc, s11, v0
	v_cmp_le_i32_e64 s[0:1], v2, v0
	s_and_b64 s[2:3], s[0:1], vcc
	s_and_b64 s[2:3], s[2:3], exec
	s_cbranch_execnz .LBB6_4
.LBB6_8:
	v_cmp_gt_i32_e32 vcc, s11, v2
	v_cmp_le_i32_e64 s[0:1], v0, v2
	s_and_b64 s[0:1], s[0:1], vcc
	s_andn2_b64 s[2:3], s[2:3], exec
	s_and_b64 s[0:1], s[0:1], exec
	s_or_b64 s[2:3], s[2:3], s[0:1]
	s_and_saveexec_b64 s[0:1], s[2:3]
	s_cbranch_execnz .LBB6_5
	s_branch .LBB6_6
	.section	.rodata,"a",@progbits
	.p2align	6, 0x0
	.amdhsa_kernel _ZL19rocblas_syr2_kernelILi128ELi8ELi1EPK19rocblas_complex_numIdES3_PS1_EvbiT2_T3_lllS6_lllT4_llli
		.amdhsa_group_segment_fixed_size 0
		.amdhsa_private_segment_fixed_size 0
		.amdhsa_kernarg_size 376
		.amdhsa_user_sgpr_count 6
		.amdhsa_user_sgpr_private_segment_buffer 1
		.amdhsa_user_sgpr_dispatch_ptr 0
		.amdhsa_user_sgpr_queue_ptr 0
		.amdhsa_user_sgpr_kernarg_segment_ptr 1
		.amdhsa_user_sgpr_dispatch_id 0
		.amdhsa_user_sgpr_flat_scratch_init 0
		.amdhsa_user_sgpr_private_segment_size 0
		.amdhsa_uses_dynamic_stack 0
		.amdhsa_system_sgpr_private_segment_wavefront_offset 0
		.amdhsa_system_sgpr_workgroup_id_x 1
		.amdhsa_system_sgpr_workgroup_id_y 1
		.amdhsa_system_sgpr_workgroup_id_z 1
		.amdhsa_system_sgpr_workgroup_info 0
		.amdhsa_system_vgpr_workitem_id 1
		.amdhsa_next_free_vgpr 22
		.amdhsa_next_free_sgpr 44
		.amdhsa_reserve_vcc 1
		.amdhsa_reserve_flat_scratch 0
		.amdhsa_float_round_mode_32 0
		.amdhsa_float_round_mode_16_64 0
		.amdhsa_float_denorm_mode_32 3
		.amdhsa_float_denorm_mode_16_64 3
		.amdhsa_dx10_clamp 1
		.amdhsa_ieee_mode 1
		.amdhsa_fp16_overflow 0
		.amdhsa_exception_fp_ieee_invalid_op 0
		.amdhsa_exception_fp_denorm_src 0
		.amdhsa_exception_fp_ieee_div_zero 0
		.amdhsa_exception_fp_ieee_overflow 0
		.amdhsa_exception_fp_ieee_underflow 0
		.amdhsa_exception_fp_ieee_inexact 0
		.amdhsa_exception_int_div_zero 0
	.end_amdhsa_kernel
	.section	.text._ZL19rocblas_syr2_kernelILi128ELi8ELi1EPK19rocblas_complex_numIdES3_PS1_EvbiT2_T3_lllS6_lllT4_llli,"axG",@progbits,_ZL19rocblas_syr2_kernelILi128ELi8ELi1EPK19rocblas_complex_numIdES3_PS1_EvbiT2_T3_lllS6_lllT4_llli,comdat
.Lfunc_end6:
	.size	_ZL19rocblas_syr2_kernelILi128ELi8ELi1EPK19rocblas_complex_numIdES3_PS1_EvbiT2_T3_lllS6_lllT4_llli, .Lfunc_end6-_ZL19rocblas_syr2_kernelILi128ELi8ELi1EPK19rocblas_complex_numIdES3_PS1_EvbiT2_T3_lllS6_lllT4_llli
                                        ; -- End function
	.set _ZL19rocblas_syr2_kernelILi128ELi8ELi1EPK19rocblas_complex_numIdES3_PS1_EvbiT2_T3_lllS6_lllT4_llli.num_vgpr, 22
	.set _ZL19rocblas_syr2_kernelILi128ELi8ELi1EPK19rocblas_complex_numIdES3_PS1_EvbiT2_T3_lllS6_lllT4_llli.num_agpr, 0
	.set _ZL19rocblas_syr2_kernelILi128ELi8ELi1EPK19rocblas_complex_numIdES3_PS1_EvbiT2_T3_lllS6_lllT4_llli.numbered_sgpr, 44
	.set _ZL19rocblas_syr2_kernelILi128ELi8ELi1EPK19rocblas_complex_numIdES3_PS1_EvbiT2_T3_lllS6_lllT4_llli.num_named_barrier, 0
	.set _ZL19rocblas_syr2_kernelILi128ELi8ELi1EPK19rocblas_complex_numIdES3_PS1_EvbiT2_T3_lllS6_lllT4_llli.private_seg_size, 0
	.set _ZL19rocblas_syr2_kernelILi128ELi8ELi1EPK19rocblas_complex_numIdES3_PS1_EvbiT2_T3_lllS6_lllT4_llli.uses_vcc, 1
	.set _ZL19rocblas_syr2_kernelILi128ELi8ELi1EPK19rocblas_complex_numIdES3_PS1_EvbiT2_T3_lllS6_lllT4_llli.uses_flat_scratch, 0
	.set _ZL19rocblas_syr2_kernelILi128ELi8ELi1EPK19rocblas_complex_numIdES3_PS1_EvbiT2_T3_lllS6_lllT4_llli.has_dyn_sized_stack, 0
	.set _ZL19rocblas_syr2_kernelILi128ELi8ELi1EPK19rocblas_complex_numIdES3_PS1_EvbiT2_T3_lllS6_lllT4_llli.has_recursion, 0
	.set _ZL19rocblas_syr2_kernelILi128ELi8ELi1EPK19rocblas_complex_numIdES3_PS1_EvbiT2_T3_lllS6_lllT4_llli.has_indirect_call, 0
	.section	.AMDGPU.csdata,"",@progbits
; Kernel info:
; codeLenInByte = 876
; TotalNumSgprs: 48
; NumVgprs: 22
; ScratchSize: 0
; MemoryBound: 0
; FloatMode: 240
; IeeeMode: 1
; LDSByteSize: 0 bytes/workgroup (compile time only)
; SGPRBlocks: 5
; VGPRBlocks: 5
; NumSGPRsForWavesPerEU: 48
; NumVGPRsForWavesPerEU: 22
; Occupancy: 10
; WaveLimiterHint : 0
; COMPUTE_PGM_RSRC2:SCRATCH_EN: 0
; COMPUTE_PGM_RSRC2:USER_SGPR: 6
; COMPUTE_PGM_RSRC2:TRAP_HANDLER: 0
; COMPUTE_PGM_RSRC2:TGID_X_EN: 1
; COMPUTE_PGM_RSRC2:TGID_Y_EN: 1
; COMPUTE_PGM_RSRC2:TGID_Z_EN: 1
; COMPUTE_PGM_RSRC2:TIDIG_COMP_CNT: 1
	.section	.text._ZL19rocblas_syr2_kernelILi128ELi8ELi1E19rocblas_complex_numIdEPKS1_PS1_EvbiT2_T3_lllS6_lllT4_llli,"axG",@progbits,_ZL19rocblas_syr2_kernelILi128ELi8ELi1E19rocblas_complex_numIdEPKS1_PS1_EvbiT2_T3_lllS6_lllT4_llli,comdat
	.globl	_ZL19rocblas_syr2_kernelILi128ELi8ELi1E19rocblas_complex_numIdEPKS1_PS1_EvbiT2_T3_lllS6_lllT4_llli ; -- Begin function _ZL19rocblas_syr2_kernelILi128ELi8ELi1E19rocblas_complex_numIdEPKS1_PS1_EvbiT2_T3_lllS6_lllT4_llli
	.p2align	8
	.type	_ZL19rocblas_syr2_kernelILi128ELi8ELi1E19rocblas_complex_numIdEPKS1_PS1_EvbiT2_T3_lllS6_lllT4_llli,@function
_ZL19rocblas_syr2_kernelILi128ELi8ELi1E19rocblas_complex_numIdEPKS1_PS1_EvbiT2_T3_lllS6_lllT4_llli: ; @_ZL19rocblas_syr2_kernelILi128ELi8ELi1E19rocblas_complex_numIdEPKS1_PS1_EvbiT2_T3_lllS6_lllT4_llli
; %bb.0:
	s_load_dwordx2 s[0:1], s[4:5], 0x8c
	s_waitcnt lgkmcnt(0)
	s_lshr_b32 s2, s0, 16
	s_and_b32 s0, s0, 0xffff
	s_and_b32 s1, s1, 0xffff
	s_mul_i32 s0, s2, s0
	s_mul_i32 s0, s0, s1
	s_cmpk_lg_i32 s0, 0x400
	s_cbranch_scc1 .LBB7_6
; %bb.1:
	s_load_dwordx16 s[12:27], s[4:5], 0x8
	s_waitcnt lgkmcnt(0)
	v_cmp_neq_f64_e64 s[0:1], s[12:13], 0
	v_cmp_neq_f64_e64 s[2:3], s[14:15], 0
	s_or_b64 s[0:1], s[0:1], s[2:3]
	s_andn2_b64 vcc, exec, s[0:1]
	s_mov_b64 s[2:3], 0
	s_cbranch_vccnz .LBB7_6
; %bb.2:
	s_load_dwordx2 s[10:11], s[4:5], 0x0
	v_lshl_add_u32 v0, s6, 7, v0
	v_lshl_add_u32 v2, s7, 3, v1
	s_mov_b64 s[0:1], -1
	s_waitcnt lgkmcnt(0)
	s_bitcmp0_b32 s10, 0
	s_cbranch_scc1 .LBB7_7
; %bb.3:
	s_andn2_b64 vcc, exec, s[0:1]
	s_cbranch_vccz .LBB7_8
.LBB7_4:
	s_and_saveexec_b64 s[0:1], s[2:3]
	s_cbranch_execz .LBB7_6
.LBB7_5:
	s_load_dwordx4 s[0:3], s[4:5], 0x68
	s_load_dwordx8 s[36:43], s[4:5], 0x48
	v_ashrrev_i32_e32 v1, 31, v0
	v_mul_lo_u32 v5, s21, v0
	v_mul_lo_u32 v6, s20, v1
	s_waitcnt lgkmcnt(0)
	s_mul_i32 s3, s3, s8
	s_mul_hi_u32 s4, s2, s8
	s_mul_i32 s2, s2, s8
	s_add_i32 s3, s4, s3
	s_lshl_b64 s[2:3], s[2:3], 4
	s_add_u32 s2, s40, s2
	s_addc_u32 s3, s41, s3
	s_lshl_b64 s[0:1], s[0:1], 4
	s_add_u32 s4, s2, s0
	s_addc_u32 s5, s3, s1
	s_mul_i32 s0, s23, s8
	s_mul_hi_u32 s1, s22, s8
	s_add_i32 s1, s1, s0
	s_mul_i32 s0, s22, s8
	s_lshl_b64 s[0:1], s[0:1], 4
	s_add_u32 s2, s16, s0
	s_addc_u32 s3, s17, s1
	s_lshl_b64 s[0:1], s[18:19], 4
	s_add_u32 s6, s2, s0
	s_addc_u32 s7, s3, s1
	v_mad_u64_u32 v[3:4], s[2:3], s20, v0, 0
	s_mul_i32 s0, s39, s8
	s_mul_hi_u32 s1, s38, s8
	v_add3_u32 v4, v4, v6, v5
	v_lshlrev_b64 v[3:4], 4, v[3:4]
	v_mov_b32_e32 v5, s7
	v_add_co_u32_e32 v3, vcc, s6, v3
	v_addc_co_u32_e32 v4, vcc, v5, v4, vcc
	v_mul_lo_u32 v9, s37, v0
	v_mul_lo_u32 v10, s36, v1
	v_mad_u64_u32 v[7:8], s[2:3], s36, v0, 0
	s_add_i32 s1, s1, s0
	s_mul_i32 s0, s38, s8
	global_load_dwordx4 v[3:6], v[3:4], off
	s_lshl_b64 s[0:1], s[0:1], 4
	s_add_u32 s8, s24, s0
	s_addc_u32 s9, s25, s1
	s_lshl_b64 s[0:1], s[26:27], 4
	v_add3_u32 v8, v8, v10, v9
	s_add_u32 s2, s8, s0
	v_lshlrev_b64 v[7:8], 4, v[7:8]
	s_addc_u32 s3, s9, s1
	v_mov_b32_e32 v9, s3
	v_add_co_u32_e32 v7, vcc, s2, v7
	v_addc_co_u32_e32 v8, vcc, v9, v8, vcc
	global_load_dwordx4 v[7:10], v[7:8], off
	v_ashrrev_i32_e32 v15, 31, v2
	v_mul_lo_u32 v16, s21, v2
	v_mad_u64_u32 v[11:12], s[0:1], s20, v2, 0
	v_mul_lo_u32 v17, s20, v15
	v_mul_lo_u32 v18, s37, v2
	;; [unrolled: 1-line block ×3, first 2 shown]
	v_mad_u64_u32 v[13:14], s[0:1], s36, v2, 0
	v_add3_u32 v12, v12, v17, v16
	v_mul_lo_u32 v17, s43, v2
	v_mul_lo_u32 v20, s42, v15
	v_mad_u64_u32 v[15:16], s[0:1], s42, v2, 0
	v_add3_u32 v14, v14, v19, v18
	v_lshlrev_b64 v[0:1], 4, v[0:1]
	v_add3_u32 v16, v16, v20, v17
	v_lshlrev_b64 v[17:18], 4, v[13:14]
	v_lshlrev_b64 v[13:14], 4, v[15:16]
	v_mov_b32_e32 v2, s5
	v_add_co_u32_e32 v13, vcc, s4, v13
	v_addc_co_u32_e32 v2, vcc, v2, v14, vcc
	v_lshlrev_b64 v[11:12], 4, v[11:12]
	v_add_co_u32_e32 v15, vcc, v13, v0
	v_addc_co_u32_e32 v16, vcc, v2, v1, vcc
	v_mov_b32_e32 v1, s7
	v_add_co_u32_e32 v0, vcc, s6, v11
	v_addc_co_u32_e32 v1, vcc, v1, v12, vcc
	global_load_dwordx4 v[11:14], v[0:1], off
	v_mov_b32_e32 v1, s3
	v_add_co_u32_e32 v0, vcc, s2, v17
	v_addc_co_u32_e32 v1, vcc, v1, v18, vcc
	s_waitcnt vmcnt(2)
	v_mul_f64 v[17:18], s[14:15], v[5:6]
	v_mul_f64 v[5:6], s[12:13], v[5:6]
	v_fma_f64 v[17:18], s[12:13], v[3:4], -v[17:18]
	v_fma_f64 v[4:5], s[14:15], v[3:4], v[5:6]
	s_waitcnt vmcnt(1)
	v_mul_f64 v[2:3], s[14:15], v[9:10]
	v_mul_f64 v[9:10], s[12:13], v[9:10]
	v_fma_f64 v[19:20], s[12:13], v[7:8], -v[2:3]
	global_load_dwordx4 v[0:3], v[0:1], off
	v_fma_f64 v[6:7], s[14:15], v[7:8], v[9:10]
	s_waitcnt vmcnt(0)
	v_mul_f64 v[8:9], v[2:3], v[4:5]
	v_mul_f64 v[4:5], v[0:1], v[4:5]
	v_fma_f64 v[8:9], v[0:1], v[17:18], -v[8:9]
	v_fma_f64 v[4:5], v[2:3], v[17:18], v[4:5]
	global_load_dwordx4 v[0:3], v[15:16], off
	v_mul_f64 v[17:18], v[13:14], v[6:7]
	v_mul_f64 v[6:7], v[11:12], v[6:7]
	v_fma_f64 v[10:11], v[11:12], v[19:20], -v[17:18]
	v_fma_f64 v[6:7], v[13:14], v[19:20], v[6:7]
	v_add_f64 v[8:9], v[8:9], v[10:11]
	v_add_f64 v[4:5], v[4:5], v[6:7]
	s_waitcnt vmcnt(0)
	v_add_f64 v[0:1], v[0:1], v[8:9]
	v_add_f64 v[2:3], v[2:3], v[4:5]
	global_store_dwordx4 v[15:16], v[0:3], off
.LBB7_6:
	s_endpgm
.LBB7_7:
	v_cmp_gt_i32_e32 vcc, s11, v0
	v_cmp_le_i32_e64 s[0:1], v2, v0
	s_and_b64 s[2:3], s[0:1], vcc
	s_and_b64 s[2:3], s[2:3], exec
	s_cbranch_execnz .LBB7_4
.LBB7_8:
	v_cmp_gt_i32_e32 vcc, s11, v2
	v_cmp_le_i32_e64 s[0:1], v0, v2
	s_and_b64 s[0:1], s[0:1], vcc
	s_andn2_b64 s[2:3], s[2:3], exec
	s_and_b64 s[0:1], s[0:1], exec
	s_or_b64 s[2:3], s[2:3], s[0:1]
	s_and_saveexec_b64 s[0:1], s[2:3]
	s_cbranch_execnz .LBB7_5
	s_branch .LBB7_6
	.section	.rodata,"a",@progbits
	.p2align	6, 0x0
	.amdhsa_kernel _ZL19rocblas_syr2_kernelILi128ELi8ELi1E19rocblas_complex_numIdEPKS1_PS1_EvbiT2_T3_lllS6_lllT4_llli
		.amdhsa_group_segment_fixed_size 0
		.amdhsa_private_segment_fixed_size 0
		.amdhsa_kernarg_size 384
		.amdhsa_user_sgpr_count 6
		.amdhsa_user_sgpr_private_segment_buffer 1
		.amdhsa_user_sgpr_dispatch_ptr 0
		.amdhsa_user_sgpr_queue_ptr 0
		.amdhsa_user_sgpr_kernarg_segment_ptr 1
		.amdhsa_user_sgpr_dispatch_id 0
		.amdhsa_user_sgpr_flat_scratch_init 0
		.amdhsa_user_sgpr_private_segment_size 0
		.amdhsa_uses_dynamic_stack 0
		.amdhsa_system_sgpr_private_segment_wavefront_offset 0
		.amdhsa_system_sgpr_workgroup_id_x 1
		.amdhsa_system_sgpr_workgroup_id_y 1
		.amdhsa_system_sgpr_workgroup_id_z 1
		.amdhsa_system_sgpr_workgroup_info 0
		.amdhsa_system_vgpr_workitem_id 1
		.amdhsa_next_free_vgpr 21
		.amdhsa_next_free_sgpr 44
		.amdhsa_reserve_vcc 1
		.amdhsa_reserve_flat_scratch 0
		.amdhsa_float_round_mode_32 0
		.amdhsa_float_round_mode_16_64 0
		.amdhsa_float_denorm_mode_32 3
		.amdhsa_float_denorm_mode_16_64 3
		.amdhsa_dx10_clamp 1
		.amdhsa_ieee_mode 1
		.amdhsa_fp16_overflow 0
		.amdhsa_exception_fp_ieee_invalid_op 0
		.amdhsa_exception_fp_denorm_src 0
		.amdhsa_exception_fp_ieee_div_zero 0
		.amdhsa_exception_fp_ieee_overflow 0
		.amdhsa_exception_fp_ieee_underflow 0
		.amdhsa_exception_fp_ieee_inexact 0
		.amdhsa_exception_int_div_zero 0
	.end_amdhsa_kernel
	.section	.text._ZL19rocblas_syr2_kernelILi128ELi8ELi1E19rocblas_complex_numIdEPKS1_PS1_EvbiT2_T3_lllS6_lllT4_llli,"axG",@progbits,_ZL19rocblas_syr2_kernelILi128ELi8ELi1E19rocblas_complex_numIdEPKS1_PS1_EvbiT2_T3_lllS6_lllT4_llli,comdat
.Lfunc_end7:
	.size	_ZL19rocblas_syr2_kernelILi128ELi8ELi1E19rocblas_complex_numIdEPKS1_PS1_EvbiT2_T3_lllS6_lllT4_llli, .Lfunc_end7-_ZL19rocblas_syr2_kernelILi128ELi8ELi1E19rocblas_complex_numIdEPKS1_PS1_EvbiT2_T3_lllS6_lllT4_llli
                                        ; -- End function
	.set _ZL19rocblas_syr2_kernelILi128ELi8ELi1E19rocblas_complex_numIdEPKS1_PS1_EvbiT2_T3_lllS6_lllT4_llli.num_vgpr, 21
	.set _ZL19rocblas_syr2_kernelILi128ELi8ELi1E19rocblas_complex_numIdEPKS1_PS1_EvbiT2_T3_lllS6_lllT4_llli.num_agpr, 0
	.set _ZL19rocblas_syr2_kernelILi128ELi8ELi1E19rocblas_complex_numIdEPKS1_PS1_EvbiT2_T3_lllS6_lllT4_llli.numbered_sgpr, 44
	.set _ZL19rocblas_syr2_kernelILi128ELi8ELi1E19rocblas_complex_numIdEPKS1_PS1_EvbiT2_T3_lllS6_lllT4_llli.num_named_barrier, 0
	.set _ZL19rocblas_syr2_kernelILi128ELi8ELi1E19rocblas_complex_numIdEPKS1_PS1_EvbiT2_T3_lllS6_lllT4_llli.private_seg_size, 0
	.set _ZL19rocblas_syr2_kernelILi128ELi8ELi1E19rocblas_complex_numIdEPKS1_PS1_EvbiT2_T3_lllS6_lllT4_llli.uses_vcc, 1
	.set _ZL19rocblas_syr2_kernelILi128ELi8ELi1E19rocblas_complex_numIdEPKS1_PS1_EvbiT2_T3_lllS6_lllT4_llli.uses_flat_scratch, 0
	.set _ZL19rocblas_syr2_kernelILi128ELi8ELi1E19rocblas_complex_numIdEPKS1_PS1_EvbiT2_T3_lllS6_lllT4_llli.has_dyn_sized_stack, 0
	.set _ZL19rocblas_syr2_kernelILi128ELi8ELi1E19rocblas_complex_numIdEPKS1_PS1_EvbiT2_T3_lllS6_lllT4_llli.has_recursion, 0
	.set _ZL19rocblas_syr2_kernelILi128ELi8ELi1E19rocblas_complex_numIdEPKS1_PS1_EvbiT2_T3_lllS6_lllT4_llli.has_indirect_call, 0
	.section	.AMDGPU.csdata,"",@progbits
; Kernel info:
; codeLenInByte = 864
; TotalNumSgprs: 48
; NumVgprs: 21
; ScratchSize: 0
; MemoryBound: 0
; FloatMode: 240
; IeeeMode: 1
; LDSByteSize: 0 bytes/workgroup (compile time only)
; SGPRBlocks: 5
; VGPRBlocks: 5
; NumSGPRsForWavesPerEU: 48
; NumVGPRsForWavesPerEU: 21
; Occupancy: 10
; WaveLimiterHint : 0
; COMPUTE_PGM_RSRC2:SCRATCH_EN: 0
; COMPUTE_PGM_RSRC2:USER_SGPR: 6
; COMPUTE_PGM_RSRC2:TRAP_HANDLER: 0
; COMPUTE_PGM_RSRC2:TGID_X_EN: 1
; COMPUTE_PGM_RSRC2:TGID_Y_EN: 1
; COMPUTE_PGM_RSRC2:TGID_Z_EN: 1
; COMPUTE_PGM_RSRC2:TIDIG_COMP_CNT: 1
	.section	.text._ZL19rocblas_syr2_kernelILi128ELi8ELi2EPKfPKS1_PKPfEvbiT2_T3_lllS8_lllT4_llli,"axG",@progbits,_ZL19rocblas_syr2_kernelILi128ELi8ELi2EPKfPKS1_PKPfEvbiT2_T3_lllS8_lllT4_llli,comdat
	.globl	_ZL19rocblas_syr2_kernelILi128ELi8ELi2EPKfPKS1_PKPfEvbiT2_T3_lllS8_lllT4_llli ; -- Begin function _ZL19rocblas_syr2_kernelILi128ELi8ELi2EPKfPKS1_PKPfEvbiT2_T3_lllS8_lllT4_llli
	.p2align	8
	.type	_ZL19rocblas_syr2_kernelILi128ELi8ELi2EPKfPKS1_PKPfEvbiT2_T3_lllS8_lllT4_llli,@function
_ZL19rocblas_syr2_kernelILi128ELi8ELi2EPKfPKS1_PKPfEvbiT2_T3_lllS8_lllT4_llli: ; @_ZL19rocblas_syr2_kernelILi128ELi8ELi2EPKfPKS1_PKPfEvbiT2_T3_lllS8_lllT4_llli
; %bb.0:
	s_load_dwordx2 s[0:1], s[4:5], 0x84
	s_waitcnt lgkmcnt(0)
	s_lshr_b32 s2, s0, 16
	s_and_b32 s0, s0, 0xffff
	s_and_b32 s1, s1, 0xffff
	s_mul_i32 s0, s2, s0
	s_mul_i32 s0, s0, s1
	s_cmpk_lg_i32 s0, 0x400
	s_cbranch_scc1 .LBB8_14
; %bb.1:
	s_load_dwordx8 s[12:19], s[4:5], 0x8
	s_mov_b32 s9, 0
	s_waitcnt lgkmcnt(0)
	s_load_dword s24, s[12:13], 0x0
	s_waitcnt lgkmcnt(0)
	v_cmp_eq_f32_e64 s[0:1], s24, 0
	s_and_b64 vcc, exec, s[0:1]
	s_cbranch_vccnz .LBB8_14
; %bb.2:
	s_load_dwordx2 s[10:11], s[4:5], 0x0
	s_load_dwordx4 s[20:23], s[4:5], 0x30
	s_load_dwordx4 s[0:3], s[4:5], 0x50
	s_load_dwordx2 s[26:27], s[4:5], 0x60
	v_lshl_add_u32 v0, s6, 8, v0
	s_waitcnt lgkmcnt(0)
	s_bitcmp1_b32 s10, 0
	s_cselect_b64 s[12:13], -1, 0
	s_lshl_b64 s[28:29], s[8:9], 3
	s_xor_b64 s[12:13], s[12:13], -1
	s_add_u32 s0, s0, s28
	s_addc_u32 s1, s1, s29
	s_load_dwordx2 s[30:31], s[0:1], 0x0
	s_load_dwordx2 s[8:9], s[4:5], 0x40
	s_lshl_b64 s[0:1], s[26:27], 2
	v_lshl_add_u32 v10, s7, 3, v1
	v_ashrrev_i32_e32 v6, 31, v10
	s_waitcnt lgkmcnt(0)
	s_add_u32 s25, s30, s0
	s_addc_u32 s26, s31, s1
	s_add_u32 s0, s14, s28
	s_addc_u32 s1, s15, s29
	s_load_dwordx2 s[0:1], s[0:1], 0x0
	s_lshl_b64 s[6:7], s[16:17], 2
	v_mul_lo_u32 v3, s8, v6
	v_mul_lo_u32 v4, s9, v10
	;; [unrolled: 1-line block ×3, first 2 shown]
	s_waitcnt lgkmcnt(0)
	s_add_u32 s14, s0, s6
	s_addc_u32 s16, s1, s7
	s_add_u32 s0, s20, s28
	s_addc_u32 s1, s21, s29
	s_load_dwordx2 s[0:1], s[0:1], 0x0
	v_mad_u64_u32 v[1:2], s[6:7], s8, v10, 0
	s_lshl_b64 s[6:7], s[22:23], 2
	v_mul_lo_u32 v9, s19, v10
	s_waitcnt lgkmcnt(0)
	s_add_u32 s10, s0, s6
	s_addc_u32 s15, s1, s7
	v_add3_u32 v2, v2, v3, v4
	v_mad_u64_u32 v[4:5], s[6:7], s18, v10, 0
	v_mul_lo_u32 v11, s2, v6
	v_mul_lo_u32 v13, s3, v10
	v_mad_u64_u32 v[6:7], s[2:3], s2, v10, 0
	v_add3_u32 v5, v5, v8, v9
	v_lshlrev_b64 v[1:2], 2, v[1:2]
	v_add3_u32 v7, v7, v11, v13
	v_lshlrev_b64 v[8:9], 2, v[4:5]
	v_lshlrev_b64 v[6:7], 2, v[6:7]
	s_mov_b64 s[4:5], -1
	v_cmp_le_i32_e64 s[0:1], s11, v10
	v_mov_b32_e32 v3, s15
	v_mov_b32_e32 v12, s16
	;; [unrolled: 1-line block ×3, first 2 shown]
	s_mov_b64 s[6:7], 0
	s_and_b64 vcc, exec, s[12:13]
	s_cbranch_vccz .LBB8_4
; %bb.3:
	v_cmp_gt_i32_e32 vcc, s11, v0
	v_cmp_le_i32_e64 s[2:3], v10, v0
	s_and_b64 s[2:3], s[2:3], vcc
	s_mov_b64 s[4:5], 0
	s_and_b64 s[6:7], s[2:3], exec
.LBB8_4:
	v_add_co_u32_e32 v4, vcc, s10, v1
	v_addc_co_u32_e32 v5, vcc, v3, v2, vcc
	v_add_co_u32_e32 v2, vcc, s14, v8
	v_addc_co_u32_e32 v3, vcc, v12, v9, vcc
	v_add_co_u32_e64 v6, s[2:3], s25, v6
	s_andn2_b64 vcc, exec, s[4:5]
	v_addc_co_u32_e64 v7, s[2:3], v11, v7, s[2:3]
	s_cbranch_vccz .LBB8_8
; %bb.5:
	v_ashrrev_i32_e32 v1, 31, v0
	s_and_saveexec_b64 s[2:3], s[6:7]
	s_cbranch_execnz .LBB8_9
.LBB8_6:
	s_or_b64 exec, exec, s[2:3]
	s_andn2_b64 vcc, exec, s[12:13]
	v_add_u32_e32 v8, 0x80, v0
	s_cbranch_vccnz .LBB8_10
.LBB8_7:
	v_cmp_gt_i32_e32 vcc, s11, v8
	v_cmp_le_i32_e64 s[2:3], v10, v8
	s_and_b64 s[2:3], vcc, s[2:3]
	s_and_b64 s[2:3], s[2:3], exec
	s_cbranch_execz .LBB8_11
	s_branch .LBB8_12
.LBB8_8:
	v_cmp_le_i32_e32 vcc, v0, v10
	s_xor_b64 s[2:3], s[0:1], -1
	s_and_b64 s[2:3], vcc, s[2:3]
	s_andn2_b64 s[4:5], s[6:7], exec
	s_and_b64 s[2:3], s[2:3], exec
	s_or_b64 s[6:7], s[4:5], s[2:3]
	v_ashrrev_i32_e32 v1, 31, v0
	s_and_saveexec_b64 s[2:3], s[6:7]
	s_cbranch_execz .LBB8_6
.LBB8_9:
	v_mul_lo_u32 v11, s19, v0
	v_mul_lo_u32 v12, s18, v1
	v_mad_u64_u32 v[8:9], s[4:5], s18, v0, 0
	v_mul_lo_u32 v14, s9, v0
	v_mul_lo_u32 v15, s8, v1
	v_add3_u32 v9, v9, v12, v11
	v_mad_u64_u32 v[11:12], s[4:5], s8, v0, 0
	v_lshlrev_b64 v[8:9], 2, v[8:9]
	v_mov_b32_e32 v13, s16
	v_add3_u32 v12, v12, v15, v14
	v_add_co_u32_e32 v8, vcc, s14, v8
	v_lshlrev_b64 v[11:12], 2, v[11:12]
	v_addc_co_u32_e32 v9, vcc, v13, v9, vcc
	v_mov_b32_e32 v14, s15
	v_add_co_u32_e32 v11, vcc, s10, v11
	v_addc_co_u32_e32 v12, vcc, v14, v12, vcc
	flat_load_dword v13, v[4:5]
	flat_load_dword v14, v[11:12]
	;; [unrolled: 1-line block ×4, first 2 shown]
	v_lshlrev_b64 v[8:9], 2, v[0:1]
	v_add_co_u32_e32 v8, vcc, v6, v8
	v_addc_co_u32_e32 v9, vcc, v7, v9, vcc
	flat_load_dword v11, v[8:9]
	s_waitcnt vmcnt(0) lgkmcnt(0)
	v_mul_f32_e32 v14, s24, v14
	v_mul_f32_e32 v12, s24, v15
	;; [unrolled: 1-line block ×3, first 2 shown]
	v_fmac_f32_e32 v14, v12, v13
	v_add_f32_e32 v11, v11, v14
	flat_store_dword v[8:9], v11
	s_or_b64 exec, exec, s[2:3]
	s_andn2_b64 vcc, exec, s[12:13]
	v_add_u32_e32 v8, 0x80, v0
	s_cbranch_vccz .LBB8_7
.LBB8_10:
	s_mov_b64 s[2:3], 0
.LBB8_11:
	v_cmp_le_i32_e32 vcc, v8, v10
	s_xor_b64 s[0:1], s[0:1], -1
	s_and_b64 s[0:1], s[0:1], vcc
	s_andn2_b64 s[2:3], s[2:3], exec
	s_and_b64 s[0:1], s[0:1], exec
	s_or_b64 s[2:3], s[2:3], s[0:1]
.LBB8_12:
	s_and_saveexec_b64 s[0:1], s[2:3]
	s_cbranch_execz .LBB8_14
; %bb.13:
	v_ashrrev_i32_e32 v11, 31, v8
	v_mul_lo_u32 v12, s19, v8
	v_mad_u64_u32 v[9:10], s[0:1], s18, v8, 0
	v_mul_lo_u32 v13, s18, v11
	v_mul_lo_u32 v14, s9, v8
	;; [unrolled: 1-line block ×3, first 2 shown]
	v_lshlrev_b64 v[0:1], 2, v[0:1]
	v_add3_u32 v10, v10, v13, v12
	v_mad_u64_u32 v[11:12], s[0:1], s8, v8, 0
	v_lshlrev_b64 v[9:10], 2, v[9:10]
	v_mov_b32_e32 v13, s16
	v_add_co_u32_e32 v8, vcc, s14, v9
	v_add3_u32 v12, v12, v15, v14
	v_addc_co_u32_e32 v9, vcc, v13, v10, vcc
	flat_load_dword v10, v[4:5]
	v_lshlrev_b64 v[4:5], 2, v[11:12]
	v_mov_b32_e32 v11, s15
	v_add_co_u32_e32 v4, vcc, s10, v4
	v_addc_co_u32_e32 v5, vcc, v11, v5, vcc
	flat_load_dword v11, v[4:5]
	flat_load_dword v12, v[8:9]
	;; [unrolled: 1-line block ×3, first 2 shown]
	v_add_co_u32_e32 v0, vcc, v6, v0
	v_addc_co_u32_e32 v1, vcc, v7, v1, vcc
	flat_load_dword v2, v[0:1] offset:512
	s_waitcnt vmcnt(0) lgkmcnt(0)
	v_mul_f32_e32 v4, s24, v11
	v_mul_f32_e32 v3, s24, v12
	;; [unrolled: 1-line block ×3, first 2 shown]
	v_fmac_f32_e32 v4, v3, v10
	v_add_f32_e32 v2, v2, v4
	flat_store_dword v[0:1], v2 offset:512
.LBB8_14:
	s_endpgm
	.section	.rodata,"a",@progbits
	.p2align	6, 0x0
	.amdhsa_kernel _ZL19rocblas_syr2_kernelILi128ELi8ELi2EPKfPKS1_PKPfEvbiT2_T3_lllS8_lllT4_llli
		.amdhsa_group_segment_fixed_size 0
		.amdhsa_private_segment_fixed_size 0
		.amdhsa_kernarg_size 376
		.amdhsa_user_sgpr_count 6
		.amdhsa_user_sgpr_private_segment_buffer 1
		.amdhsa_user_sgpr_dispatch_ptr 0
		.amdhsa_user_sgpr_queue_ptr 0
		.amdhsa_user_sgpr_kernarg_segment_ptr 1
		.amdhsa_user_sgpr_dispatch_id 0
		.amdhsa_user_sgpr_flat_scratch_init 0
		.amdhsa_user_sgpr_private_segment_size 0
		.amdhsa_uses_dynamic_stack 0
		.amdhsa_system_sgpr_private_segment_wavefront_offset 0
		.amdhsa_system_sgpr_workgroup_id_x 1
		.amdhsa_system_sgpr_workgroup_id_y 1
		.amdhsa_system_sgpr_workgroup_id_z 1
		.amdhsa_system_sgpr_workgroup_info 0
		.amdhsa_system_vgpr_workitem_id 1
		.amdhsa_next_free_vgpr 17
		.amdhsa_next_free_sgpr 32
		.amdhsa_reserve_vcc 1
		.amdhsa_reserve_flat_scratch 0
		.amdhsa_float_round_mode_32 0
		.amdhsa_float_round_mode_16_64 0
		.amdhsa_float_denorm_mode_32 3
		.amdhsa_float_denorm_mode_16_64 3
		.amdhsa_dx10_clamp 1
		.amdhsa_ieee_mode 1
		.amdhsa_fp16_overflow 0
		.amdhsa_exception_fp_ieee_invalid_op 0
		.amdhsa_exception_fp_denorm_src 0
		.amdhsa_exception_fp_ieee_div_zero 0
		.amdhsa_exception_fp_ieee_overflow 0
		.amdhsa_exception_fp_ieee_underflow 0
		.amdhsa_exception_fp_ieee_inexact 0
		.amdhsa_exception_int_div_zero 0
	.end_amdhsa_kernel
	.section	.text._ZL19rocblas_syr2_kernelILi128ELi8ELi2EPKfPKS1_PKPfEvbiT2_T3_lllS8_lllT4_llli,"axG",@progbits,_ZL19rocblas_syr2_kernelILi128ELi8ELi2EPKfPKS1_PKPfEvbiT2_T3_lllS8_lllT4_llli,comdat
.Lfunc_end8:
	.size	_ZL19rocblas_syr2_kernelILi128ELi8ELi2EPKfPKS1_PKPfEvbiT2_T3_lllS8_lllT4_llli, .Lfunc_end8-_ZL19rocblas_syr2_kernelILi128ELi8ELi2EPKfPKS1_PKPfEvbiT2_T3_lllS8_lllT4_llli
                                        ; -- End function
	.set _ZL19rocblas_syr2_kernelILi128ELi8ELi2EPKfPKS1_PKPfEvbiT2_T3_lllS8_lllT4_llli.num_vgpr, 17
	.set _ZL19rocblas_syr2_kernelILi128ELi8ELi2EPKfPKS1_PKPfEvbiT2_T3_lllS8_lllT4_llli.num_agpr, 0
	.set _ZL19rocblas_syr2_kernelILi128ELi8ELi2EPKfPKS1_PKPfEvbiT2_T3_lllS8_lllT4_llli.numbered_sgpr, 32
	.set _ZL19rocblas_syr2_kernelILi128ELi8ELi2EPKfPKS1_PKPfEvbiT2_T3_lllS8_lllT4_llli.num_named_barrier, 0
	.set _ZL19rocblas_syr2_kernelILi128ELi8ELi2EPKfPKS1_PKPfEvbiT2_T3_lllS8_lllT4_llli.private_seg_size, 0
	.set _ZL19rocblas_syr2_kernelILi128ELi8ELi2EPKfPKS1_PKPfEvbiT2_T3_lllS8_lllT4_llli.uses_vcc, 1
	.set _ZL19rocblas_syr2_kernelILi128ELi8ELi2EPKfPKS1_PKPfEvbiT2_T3_lllS8_lllT4_llli.uses_flat_scratch, 0
	.set _ZL19rocblas_syr2_kernelILi128ELi8ELi2EPKfPKS1_PKPfEvbiT2_T3_lllS8_lllT4_llli.has_dyn_sized_stack, 0
	.set _ZL19rocblas_syr2_kernelILi128ELi8ELi2EPKfPKS1_PKPfEvbiT2_T3_lllS8_lllT4_llli.has_recursion, 0
	.set _ZL19rocblas_syr2_kernelILi128ELi8ELi2EPKfPKS1_PKPfEvbiT2_T3_lllS8_lllT4_llli.has_indirect_call, 0
	.section	.AMDGPU.csdata,"",@progbits
; Kernel info:
; codeLenInByte = 1032
; TotalNumSgprs: 36
; NumVgprs: 17
; ScratchSize: 0
; MemoryBound: 0
; FloatMode: 240
; IeeeMode: 1
; LDSByteSize: 0 bytes/workgroup (compile time only)
; SGPRBlocks: 4
; VGPRBlocks: 4
; NumSGPRsForWavesPerEU: 36
; NumVGPRsForWavesPerEU: 17
; Occupancy: 10
; WaveLimiterHint : 1
; COMPUTE_PGM_RSRC2:SCRATCH_EN: 0
; COMPUTE_PGM_RSRC2:USER_SGPR: 6
; COMPUTE_PGM_RSRC2:TRAP_HANDLER: 0
; COMPUTE_PGM_RSRC2:TGID_X_EN: 1
; COMPUTE_PGM_RSRC2:TGID_Y_EN: 1
; COMPUTE_PGM_RSRC2:TGID_Z_EN: 1
; COMPUTE_PGM_RSRC2:TIDIG_COMP_CNT: 1
	.section	.text._ZL19rocblas_syr2_kernelILi128ELi8ELi2EfPKPKfPKPfEvbiT2_T3_lllS8_lllT4_llli,"axG",@progbits,_ZL19rocblas_syr2_kernelILi128ELi8ELi2EfPKPKfPKPfEvbiT2_T3_lllS8_lllT4_llli,comdat
	.globl	_ZL19rocblas_syr2_kernelILi128ELi8ELi2EfPKPKfPKPfEvbiT2_T3_lllS8_lllT4_llli ; -- Begin function _ZL19rocblas_syr2_kernelILi128ELi8ELi2EfPKPKfPKPfEvbiT2_T3_lllS8_lllT4_llli
	.p2align	8
	.type	_ZL19rocblas_syr2_kernelILi128ELi8ELi2EfPKPKfPKPfEvbiT2_T3_lllS8_lllT4_llli,@function
_ZL19rocblas_syr2_kernelILi128ELi8ELi2EfPKPKfPKPfEvbiT2_T3_lllS8_lllT4_llli: ; @_ZL19rocblas_syr2_kernelILi128ELi8ELi2EfPKPKfPKPfEvbiT2_T3_lllS8_lllT4_llli
; %bb.0:
	s_load_dwordx2 s[0:1], s[4:5], 0x84
	s_load_dwordx4 s[12:15], s[4:5], 0x0
	s_mov_b32 s9, 0
	s_waitcnt lgkmcnt(0)
	s_lshr_b32 s2, s0, 16
	s_and_b32 s0, s0, 0xffff
	s_and_b32 s1, s1, 0xffff
	s_mul_i32 s0, s2, s0
	s_mul_i32 s0, s0, s1
	s_cmpk_lg_i32 s0, 0x400
	s_cselect_b64 s[0:1], -1, 0
	v_cmp_eq_f32_e64 s[2:3], s14, 0
	s_or_b64 s[0:1], s[2:3], s[0:1]
	s_and_b64 vcc, exec, s[0:1]
	s_cbranch_vccnz .LBB9_13
; %bb.1:
	s_load_dwordx4 s[0:3], s[4:5], 0x50
	s_load_dwordx2 s[18:19], s[4:5], 0x60
	s_bitcmp1_b32 s12, 0
	s_cselect_b64 s[10:11], -1, 0
	s_xor_b64 s[16:17], s[10:11], -1
	s_lshl_b64 s[22:23], s[8:9], 3
	s_waitcnt lgkmcnt(0)
	s_add_u32 s0, s0, s22
	s_addc_u32 s1, s1, s23
	s_load_dwordx2 s[8:9], s[0:1], 0x0
	s_load_dwordx4 s[24:27], s[4:5], 0x10
	s_load_dwordx2 s[10:11], s[4:5], 0x20
	s_lshl_b64 s[0:1], s[18:19], 2
	v_lshl_add_u32 v10, s7, 3, v1
	s_waitcnt lgkmcnt(0)
	s_add_u32 s21, s8, s0
	s_addc_u32 s33, s9, s1
	s_add_u32 s0, s24, s22
	s_addc_u32 s1, s25, s23
	s_load_dwordx2 s[0:1], s[0:1], 0x0
	s_nop 0
	s_load_dwordx4 s[28:31], s[4:5], 0x30
	s_load_dwordx2 s[8:9], s[4:5], 0x40
	s_lshl_b64 s[4:5], s[26:27], 2
	v_ashrrev_i32_e32 v6, 31, v10
	v_mul_lo_u32 v8, s10, v6
	s_waitcnt lgkmcnt(0)
	s_add_u32 s12, s0, s4
	s_addc_u32 s15, s1, s5
	s_add_u32 s0, s28, s22
	s_addc_u32 s1, s29, s23
	s_load_dwordx2 s[0:1], s[0:1], 0x0
	v_mul_lo_u32 v3, s8, v6
	v_mul_lo_u32 v4, s9, v10
	v_mad_u64_u32 v[1:2], s[22:23], s8, v10, 0
	s_lshl_b64 s[4:5], s[30:31], 2
	s_waitcnt lgkmcnt(0)
	s_add_u32 s7, s0, s4
	s_addc_u32 s20, s1, s5
	v_add3_u32 v2, v2, v3, v4
	v_mul_lo_u32 v9, s11, v10
	v_mad_u64_u32 v[4:5], s[4:5], s10, v10, 0
	v_mul_lo_u32 v11, s2, v6
	v_mul_lo_u32 v13, s3, v10
	v_mad_u64_u32 v[6:7], s[2:3], s2, v10, 0
	v_add3_u32 v5, v5, v8, v9
	v_lshlrev_b64 v[1:2], 2, v[1:2]
	v_add3_u32 v7, v7, v11, v13
	v_lshlrev_b64 v[8:9], 2, v[4:5]
	v_lshlrev_b64 v[6:7], 2, v[6:7]
	s_mov_b64 s[18:19], -1
	v_lshl_add_u32 v0, s6, 8, v0
	v_cmp_le_i32_e64 s[0:1], s13, v10
	v_mov_b32_e32 v3, s20
	v_mov_b32_e32 v12, s15
	;; [unrolled: 1-line block ×3, first 2 shown]
	s_mov_b64 s[4:5], 0
	s_and_b64 vcc, exec, s[16:17]
	s_cbranch_vccz .LBB9_3
; %bb.2:
	v_cmp_gt_i32_e32 vcc, s13, v0
	v_cmp_le_i32_e64 s[2:3], v10, v0
	s_and_b64 s[2:3], s[2:3], vcc
	s_mov_b64 s[18:19], 0
	s_and_b64 s[4:5], s[2:3], exec
.LBB9_3:
	v_add_co_u32_e32 v4, vcc, s7, v1
	v_addc_co_u32_e32 v5, vcc, v3, v2, vcc
	v_add_co_u32_e32 v2, vcc, s12, v8
	v_addc_co_u32_e32 v3, vcc, v12, v9, vcc
	v_add_co_u32_e64 v6, s[2:3], s21, v6
	s_andn2_b64 vcc, exec, s[18:19]
	v_addc_co_u32_e64 v7, s[2:3], v11, v7, s[2:3]
	s_cbranch_vccz .LBB9_7
; %bb.4:
	v_ashrrev_i32_e32 v1, 31, v0
	s_and_saveexec_b64 s[2:3], s[4:5]
	s_cbranch_execnz .LBB9_8
.LBB9_5:
	s_or_b64 exec, exec, s[2:3]
	s_andn2_b64 vcc, exec, s[16:17]
	v_add_u32_e32 v8, 0x80, v0
	s_cbranch_vccnz .LBB9_9
.LBB9_6:
	v_cmp_gt_i32_e32 vcc, s13, v8
	v_cmp_le_i32_e64 s[2:3], v10, v8
	s_and_b64 s[2:3], vcc, s[2:3]
	s_and_b64 s[2:3], s[2:3], exec
	s_cbranch_execz .LBB9_10
	s_branch .LBB9_11
.LBB9_7:
	v_cmp_le_i32_e32 vcc, v0, v10
	s_xor_b64 s[2:3], s[0:1], -1
	s_and_b64 s[2:3], vcc, s[2:3]
	s_andn2_b64 s[4:5], s[4:5], exec
	s_and_b64 s[2:3], s[2:3], exec
	s_or_b64 s[4:5], s[4:5], s[2:3]
	v_ashrrev_i32_e32 v1, 31, v0
	s_and_saveexec_b64 s[2:3], s[4:5]
	s_cbranch_execz .LBB9_5
.LBB9_8:
	v_mul_lo_u32 v11, s11, v0
	v_mul_lo_u32 v12, s10, v1
	v_mad_u64_u32 v[8:9], s[4:5], s10, v0, 0
	v_mul_lo_u32 v14, s9, v0
	v_mul_lo_u32 v15, s8, v1
	v_add3_u32 v9, v9, v12, v11
	v_mad_u64_u32 v[11:12], s[4:5], s8, v0, 0
	v_lshlrev_b64 v[8:9], 2, v[8:9]
	v_mov_b32_e32 v13, s15
	v_add3_u32 v12, v12, v15, v14
	v_add_co_u32_e32 v8, vcc, s12, v8
	v_lshlrev_b64 v[11:12], 2, v[11:12]
	v_addc_co_u32_e32 v9, vcc, v13, v9, vcc
	v_mov_b32_e32 v14, s20
	v_add_co_u32_e32 v11, vcc, s7, v11
	v_addc_co_u32_e32 v12, vcc, v14, v12, vcc
	flat_load_dword v13, v[4:5]
	flat_load_dword v14, v[11:12]
	;; [unrolled: 1-line block ×4, first 2 shown]
	v_lshlrev_b64 v[8:9], 2, v[0:1]
	v_add_co_u32_e32 v8, vcc, v6, v8
	v_addc_co_u32_e32 v9, vcc, v7, v9, vcc
	flat_load_dword v11, v[8:9]
	s_waitcnt vmcnt(0) lgkmcnt(0)
	v_mul_f32_e32 v14, s14, v14
	v_mul_f32_e32 v12, s14, v15
	;; [unrolled: 1-line block ×3, first 2 shown]
	v_fmac_f32_e32 v14, v12, v13
	v_add_f32_e32 v11, v11, v14
	flat_store_dword v[8:9], v11
	s_or_b64 exec, exec, s[2:3]
	s_andn2_b64 vcc, exec, s[16:17]
	v_add_u32_e32 v8, 0x80, v0
	s_cbranch_vccz .LBB9_6
.LBB9_9:
	s_mov_b64 s[2:3], 0
.LBB9_10:
	v_cmp_le_i32_e32 vcc, v8, v10
	s_xor_b64 s[0:1], s[0:1], -1
	s_and_b64 s[0:1], s[0:1], vcc
	s_andn2_b64 s[2:3], s[2:3], exec
	s_and_b64 s[0:1], s[0:1], exec
	s_or_b64 s[2:3], s[2:3], s[0:1]
.LBB9_11:
	s_and_saveexec_b64 s[0:1], s[2:3]
	s_cbranch_execz .LBB9_13
; %bb.12:
	v_ashrrev_i32_e32 v11, 31, v8
	v_mul_lo_u32 v12, s11, v8
	v_mad_u64_u32 v[9:10], s[0:1], s10, v8, 0
	v_mul_lo_u32 v13, s10, v11
	v_mul_lo_u32 v14, s9, v8
	v_mul_lo_u32 v15, s8, v11
	v_lshlrev_b64 v[0:1], 2, v[0:1]
	v_add3_u32 v10, v10, v13, v12
	v_mad_u64_u32 v[11:12], s[0:1], s8, v8, 0
	v_lshlrev_b64 v[9:10], 2, v[9:10]
	v_mov_b32_e32 v13, s15
	v_add_co_u32_e32 v8, vcc, s12, v9
	v_add3_u32 v12, v12, v15, v14
	v_addc_co_u32_e32 v9, vcc, v13, v10, vcc
	flat_load_dword v10, v[4:5]
	v_lshlrev_b64 v[4:5], 2, v[11:12]
	v_mov_b32_e32 v11, s20
	v_add_co_u32_e32 v4, vcc, s7, v4
	v_addc_co_u32_e32 v5, vcc, v11, v5, vcc
	flat_load_dword v11, v[4:5]
	flat_load_dword v12, v[8:9]
	;; [unrolled: 1-line block ×3, first 2 shown]
	v_add_co_u32_e32 v0, vcc, v6, v0
	v_addc_co_u32_e32 v1, vcc, v7, v1, vcc
	flat_load_dword v2, v[0:1] offset:512
	s_waitcnt vmcnt(0) lgkmcnt(0)
	v_mul_f32_e32 v4, s14, v11
	v_mul_f32_e32 v3, s14, v12
	;; [unrolled: 1-line block ×3, first 2 shown]
	v_fmac_f32_e32 v4, v3, v10
	v_add_f32_e32 v2, v2, v4
	flat_store_dword v[0:1], v2 offset:512
.LBB9_13:
	s_endpgm
	.section	.rodata,"a",@progbits
	.p2align	6, 0x0
	.amdhsa_kernel _ZL19rocblas_syr2_kernelILi128ELi8ELi2EfPKPKfPKPfEvbiT2_T3_lllS8_lllT4_llli
		.amdhsa_group_segment_fixed_size 0
		.amdhsa_private_segment_fixed_size 0
		.amdhsa_kernarg_size 376
		.amdhsa_user_sgpr_count 6
		.amdhsa_user_sgpr_private_segment_buffer 1
		.amdhsa_user_sgpr_dispatch_ptr 0
		.amdhsa_user_sgpr_queue_ptr 0
		.amdhsa_user_sgpr_kernarg_segment_ptr 1
		.amdhsa_user_sgpr_dispatch_id 0
		.amdhsa_user_sgpr_flat_scratch_init 0
		.amdhsa_user_sgpr_private_segment_size 0
		.amdhsa_uses_dynamic_stack 0
		.amdhsa_system_sgpr_private_segment_wavefront_offset 0
		.amdhsa_system_sgpr_workgroup_id_x 1
		.amdhsa_system_sgpr_workgroup_id_y 1
		.amdhsa_system_sgpr_workgroup_id_z 1
		.amdhsa_system_sgpr_workgroup_info 0
		.amdhsa_system_vgpr_workitem_id 1
		.amdhsa_next_free_vgpr 17
		.amdhsa_next_free_sgpr 34
		.amdhsa_reserve_vcc 1
		.amdhsa_reserve_flat_scratch 0
		.amdhsa_float_round_mode_32 0
		.amdhsa_float_round_mode_16_64 0
		.amdhsa_float_denorm_mode_32 3
		.amdhsa_float_denorm_mode_16_64 3
		.amdhsa_dx10_clamp 1
		.amdhsa_ieee_mode 1
		.amdhsa_fp16_overflow 0
		.amdhsa_exception_fp_ieee_invalid_op 0
		.amdhsa_exception_fp_denorm_src 0
		.amdhsa_exception_fp_ieee_div_zero 0
		.amdhsa_exception_fp_ieee_overflow 0
		.amdhsa_exception_fp_ieee_underflow 0
		.amdhsa_exception_fp_ieee_inexact 0
		.amdhsa_exception_int_div_zero 0
	.end_amdhsa_kernel
	.section	.text._ZL19rocblas_syr2_kernelILi128ELi8ELi2EfPKPKfPKPfEvbiT2_T3_lllS8_lllT4_llli,"axG",@progbits,_ZL19rocblas_syr2_kernelILi128ELi8ELi2EfPKPKfPKPfEvbiT2_T3_lllS8_lllT4_llli,comdat
.Lfunc_end9:
	.size	_ZL19rocblas_syr2_kernelILi128ELi8ELi2EfPKPKfPKPfEvbiT2_T3_lllS8_lllT4_llli, .Lfunc_end9-_ZL19rocblas_syr2_kernelILi128ELi8ELi2EfPKPKfPKPfEvbiT2_T3_lllS8_lllT4_llli
                                        ; -- End function
	.set _ZL19rocblas_syr2_kernelILi128ELi8ELi2EfPKPKfPKPfEvbiT2_T3_lllS8_lllT4_llli.num_vgpr, 17
	.set _ZL19rocblas_syr2_kernelILi128ELi8ELi2EfPKPKfPKPfEvbiT2_T3_lllS8_lllT4_llli.num_agpr, 0
	.set _ZL19rocblas_syr2_kernelILi128ELi8ELi2EfPKPKfPKPfEvbiT2_T3_lllS8_lllT4_llli.numbered_sgpr, 34
	.set _ZL19rocblas_syr2_kernelILi128ELi8ELi2EfPKPKfPKPfEvbiT2_T3_lllS8_lllT4_llli.num_named_barrier, 0
	.set _ZL19rocblas_syr2_kernelILi128ELi8ELi2EfPKPKfPKPfEvbiT2_T3_lllS8_lllT4_llli.private_seg_size, 0
	.set _ZL19rocblas_syr2_kernelILi128ELi8ELi2EfPKPKfPKPfEvbiT2_T3_lllS8_lllT4_llli.uses_vcc, 1
	.set _ZL19rocblas_syr2_kernelILi128ELi8ELi2EfPKPKfPKPfEvbiT2_T3_lllS8_lllT4_llli.uses_flat_scratch, 0
	.set _ZL19rocblas_syr2_kernelILi128ELi8ELi2EfPKPKfPKPfEvbiT2_T3_lllS8_lllT4_llli.has_dyn_sized_stack, 0
	.set _ZL19rocblas_syr2_kernelILi128ELi8ELi2EfPKPKfPKPfEvbiT2_T3_lllS8_lllT4_llli.has_recursion, 0
	.set _ZL19rocblas_syr2_kernelILi128ELi8ELi2EfPKPKfPKPfEvbiT2_T3_lllS8_lllT4_llli.has_indirect_call, 0
	.section	.AMDGPU.csdata,"",@progbits
; Kernel info:
; codeLenInByte = 1032
; TotalNumSgprs: 38
; NumVgprs: 17
; ScratchSize: 0
; MemoryBound: 0
; FloatMode: 240
; IeeeMode: 1
; LDSByteSize: 0 bytes/workgroup (compile time only)
; SGPRBlocks: 4
; VGPRBlocks: 4
; NumSGPRsForWavesPerEU: 38
; NumVGPRsForWavesPerEU: 17
; Occupancy: 10
; WaveLimiterHint : 1
; COMPUTE_PGM_RSRC2:SCRATCH_EN: 0
; COMPUTE_PGM_RSRC2:USER_SGPR: 6
; COMPUTE_PGM_RSRC2:TRAP_HANDLER: 0
; COMPUTE_PGM_RSRC2:TGID_X_EN: 1
; COMPUTE_PGM_RSRC2:TGID_Y_EN: 1
; COMPUTE_PGM_RSRC2:TGID_Z_EN: 1
; COMPUTE_PGM_RSRC2:TIDIG_COMP_CNT: 1
	.section	.text._ZL19rocblas_syr2_kernelILi128ELi8ELi1EPKdPKS1_PKPdEvbiT2_T3_lllS8_lllT4_llli,"axG",@progbits,_ZL19rocblas_syr2_kernelILi128ELi8ELi1EPKdPKS1_PKPdEvbiT2_T3_lllS8_lllT4_llli,comdat
	.globl	_ZL19rocblas_syr2_kernelILi128ELi8ELi1EPKdPKS1_PKPdEvbiT2_T3_lllS8_lllT4_llli ; -- Begin function _ZL19rocblas_syr2_kernelILi128ELi8ELi1EPKdPKS1_PKPdEvbiT2_T3_lllS8_lllT4_llli
	.p2align	8
	.type	_ZL19rocblas_syr2_kernelILi128ELi8ELi1EPKdPKS1_PKPdEvbiT2_T3_lllS8_lllT4_llli,@function
_ZL19rocblas_syr2_kernelILi128ELi8ELi1EPKdPKS1_PKPdEvbiT2_T3_lllS8_lllT4_llli: ; @_ZL19rocblas_syr2_kernelILi128ELi8ELi1EPKdPKS1_PKPdEvbiT2_T3_lllS8_lllT4_llli
; %bb.0:
	s_load_dwordx2 s[0:1], s[4:5], 0x84
	s_waitcnt lgkmcnt(0)
	s_lshr_b32 s2, s0, 16
	s_and_b32 s0, s0, 0xffff
	s_and_b32 s1, s1, 0xffff
	s_mul_i32 s0, s2, s0
	s_mul_i32 s0, s0, s1
	s_cmpk_lg_i32 s0, 0x400
	s_cbranch_scc1 .LBB10_6
; %bb.1:
	s_load_dwordx8 s[12:19], s[4:5], 0x8
	s_mov_b64 s[24:25], 0
	s_waitcnt lgkmcnt(0)
	s_load_dwordx2 s[10:11], s[12:13], 0x0
	s_waitcnt lgkmcnt(0)
	v_cmp_eq_f64_e64 s[0:1], s[10:11], 0
	s_and_b64 vcc, exec, s[0:1]
	s_cbranch_vccnz .LBB10_6
; %bb.2:
	s_load_dwordx2 s[26:27], s[4:5], 0x0
	s_load_dwordx4 s[0:3], s[4:5], 0x50
	s_load_dwordx4 s[20:23], s[4:5], 0x30
	s_mov_b32 s9, 0
	s_lshl_b64 s[28:29], s[8:9], 3
	s_waitcnt lgkmcnt(0)
	s_and_b32 s26, s26, 1
	s_add_u32 s8, s0, s28
	s_addc_u32 s9, s1, s29
	s_add_u32 s12, s14, s28
	s_addc_u32 s13, s15, s29
	;; [unrolled: 2-line block ×3, first 2 shown]
	s_cmp_eq_u32 s26, 0
	v_lshl_add_u32 v0, s6, 7, v0
	v_lshl_add_u32 v1, s7, 3, v1
	s_mov_b64 s[0:1], -1
	s_cbranch_scc1 .LBB10_7
; %bb.3:
	s_andn2_b64 vcc, exec, s[0:1]
	s_cbranch_vccz .LBB10_8
.LBB10_4:
	s_and_saveexec_b64 s[0:1], s[24:25]
	s_cbranch_execz .LBB10_6
.LBB10_5:
	s_load_dwordx2 s[0:1], s[4:5], 0x60
	s_load_dwordx2 s[6:7], s[8:9], 0x0
	;; [unrolled: 1-line block ×5, first 2 shown]
	s_waitcnt lgkmcnt(0)
	s_lshl_b64 s[0:1], s[0:1], 3
	s_add_u32 s4, s6, s0
	s_addc_u32 s5, s7, s1
	s_lshl_b64 s[0:1], s[16:17], 3
	s_add_u32 s6, s24, s0
	s_addc_u32 s7, s25, s1
	s_lshl_b64 s[0:1], s[22:23], 3
	s_add_u32 s8, s26, s0
	v_ashrrev_i32_e32 v6, 31, v1
	s_addc_u32 s9, s27, s1
	v_mul_lo_u32 v9, s19, v1
	v_mul_lo_u32 v10, s18, v6
	v_mad_u64_u32 v[4:5], s[0:1], s18, v1, 0
	v_mul_lo_u32 v7, s21, v1
	v_mul_lo_u32 v8, s20, v6
	v_mad_u64_u32 v[2:3], s[0:1], s20, v1, 0
	v_add3_u32 v5, v5, v10, v9
	v_lshlrev_b64 v[4:5], 3, v[4:5]
	v_add3_u32 v3, v3, v8, v7
	v_mov_b32_e32 v7, s7
	v_add_co_u32_e32 v4, vcc, s6, v4
	v_addc_co_u32_e32 v5, vcc, v7, v5, vcc
	v_mul_lo_u32 v17, s3, v1
	v_mul_lo_u32 v18, s2, v6
	v_mad_u64_u32 v[6:7], s[0:1], s2, v1, 0
	v_ashrrev_i32_e32 v1, 31, v0
	v_mul_lo_u32 v14, s21, v0
	v_mul_lo_u32 v15, s20, v1
	v_mad_u64_u32 v[10:11], s[0:1], s20, v0, 0
	v_mul_lo_u32 v12, s19, v0
	v_mul_lo_u32 v13, s18, v1
	v_mad_u64_u32 v[8:9], s[0:1], s18, v0, 0
	v_add3_u32 v11, v11, v15, v14
	v_lshlrev_b64 v[10:11], 3, v[10:11]
	v_add3_u32 v9, v9, v13, v12
	v_mov_b32_e32 v13, s9
	v_add_co_u32_e32 v10, vcc, s8, v10
	v_addc_co_u32_e32 v11, vcc, v13, v11, vcc
	flat_load_dwordx2 v[10:11], v[10:11]
	v_lshlrev_b64 v[8:9], 3, v[8:9]
	v_mov_b32_e32 v12, s7
	v_add_co_u32_e32 v8, vcc, s6, v8
	v_addc_co_u32_e32 v9, vcc, v12, v9, vcc
	flat_load_dwordx2 v[12:13], v[8:9]
	flat_load_dwordx2 v[14:15], v[4:5]
	v_lshlrev_b64 v[2:3], 3, v[2:3]
	v_mov_b32_e32 v16, s9
	v_add_co_u32_e32 v2, vcc, s8, v2
	v_addc_co_u32_e32 v3, vcc, v16, v3, vcc
	flat_load_dwordx2 v[2:3], v[2:3]
	v_add3_u32 v7, v7, v18, v17
	v_lshlrev_b64 v[4:5], 3, v[6:7]
	v_mov_b32_e32 v6, s5
	v_add_co_u32_e32 v4, vcc, s4, v4
	v_lshlrev_b64 v[0:1], 3, v[0:1]
	v_addc_co_u32_e32 v5, vcc, v6, v5, vcc
	v_add_co_u32_e32 v0, vcc, v4, v0
	v_addc_co_u32_e32 v1, vcc, v5, v1, vcc
	flat_load_dwordx2 v[4:5], v[0:1]
	s_waitcnt vmcnt(0) lgkmcnt(0)
	v_mul_f64 v[6:7], s[10:11], v[10:11]
	v_mul_f64 v[8:9], s[10:11], v[12:13]
	;; [unrolled: 1-line block ×3, first 2 shown]
	v_fma_f64 v[2:3], v[8:9], v[2:3], v[6:7]
	v_add_f64 v[2:3], v[4:5], v[2:3]
	flat_store_dwordx2 v[0:1], v[2:3]
.LBB10_6:
	s_endpgm
.LBB10_7:
	v_cmp_gt_i32_e32 vcc, s27, v0
	v_cmp_le_i32_e64 s[0:1], v1, v0
	s_and_b64 s[6:7], s[0:1], vcc
	s_and_b64 s[24:25], s[6:7], exec
	s_cbranch_execnz .LBB10_4
.LBB10_8:
	v_cmp_gt_i32_e32 vcc, s27, v1
	v_cmp_le_i32_e64 s[0:1], v0, v1
	s_and_b64 s[0:1], s[0:1], vcc
	s_andn2_b64 s[6:7], s[24:25], exec
	s_and_b64 s[0:1], s[0:1], exec
	s_or_b64 s[24:25], s[6:7], s[0:1]
	s_and_saveexec_b64 s[0:1], s[24:25]
	s_cbranch_execnz .LBB10_5
	s_branch .LBB10_6
	.section	.rodata,"a",@progbits
	.p2align	6, 0x0
	.amdhsa_kernel _ZL19rocblas_syr2_kernelILi128ELi8ELi1EPKdPKS1_PKPdEvbiT2_T3_lllS8_lllT4_llli
		.amdhsa_group_segment_fixed_size 0
		.amdhsa_private_segment_fixed_size 0
		.amdhsa_kernarg_size 376
		.amdhsa_user_sgpr_count 6
		.amdhsa_user_sgpr_private_segment_buffer 1
		.amdhsa_user_sgpr_dispatch_ptr 0
		.amdhsa_user_sgpr_queue_ptr 0
		.amdhsa_user_sgpr_kernarg_segment_ptr 1
		.amdhsa_user_sgpr_dispatch_id 0
		.amdhsa_user_sgpr_flat_scratch_init 0
		.amdhsa_user_sgpr_private_segment_size 0
		.amdhsa_uses_dynamic_stack 0
		.amdhsa_system_sgpr_private_segment_wavefront_offset 0
		.amdhsa_system_sgpr_workgroup_id_x 1
		.amdhsa_system_sgpr_workgroup_id_y 1
		.amdhsa_system_sgpr_workgroup_id_z 1
		.amdhsa_system_sgpr_workgroup_info 0
		.amdhsa_system_vgpr_workitem_id 1
		.amdhsa_next_free_vgpr 19
		.amdhsa_next_free_sgpr 30
		.amdhsa_reserve_vcc 1
		.amdhsa_reserve_flat_scratch 0
		.amdhsa_float_round_mode_32 0
		.amdhsa_float_round_mode_16_64 0
		.amdhsa_float_denorm_mode_32 3
		.amdhsa_float_denorm_mode_16_64 3
		.amdhsa_dx10_clamp 1
		.amdhsa_ieee_mode 1
		.amdhsa_fp16_overflow 0
		.amdhsa_exception_fp_ieee_invalid_op 0
		.amdhsa_exception_fp_denorm_src 0
		.amdhsa_exception_fp_ieee_div_zero 0
		.amdhsa_exception_fp_ieee_overflow 0
		.amdhsa_exception_fp_ieee_underflow 0
		.amdhsa_exception_fp_ieee_inexact 0
		.amdhsa_exception_int_div_zero 0
	.end_amdhsa_kernel
	.section	.text._ZL19rocblas_syr2_kernelILi128ELi8ELi1EPKdPKS1_PKPdEvbiT2_T3_lllS8_lllT4_llli,"axG",@progbits,_ZL19rocblas_syr2_kernelILi128ELi8ELi1EPKdPKS1_PKPdEvbiT2_T3_lllS8_lllT4_llli,comdat
.Lfunc_end10:
	.size	_ZL19rocblas_syr2_kernelILi128ELi8ELi1EPKdPKS1_PKPdEvbiT2_T3_lllS8_lllT4_llli, .Lfunc_end10-_ZL19rocblas_syr2_kernelILi128ELi8ELi1EPKdPKS1_PKPdEvbiT2_T3_lllS8_lllT4_llli
                                        ; -- End function
	.set _ZL19rocblas_syr2_kernelILi128ELi8ELi1EPKdPKS1_PKPdEvbiT2_T3_lllS8_lllT4_llli.num_vgpr, 19
	.set _ZL19rocblas_syr2_kernelILi128ELi8ELi1EPKdPKS1_PKPdEvbiT2_T3_lllS8_lllT4_llli.num_agpr, 0
	.set _ZL19rocblas_syr2_kernelILi128ELi8ELi1EPKdPKS1_PKPdEvbiT2_T3_lllS8_lllT4_llli.numbered_sgpr, 30
	.set _ZL19rocblas_syr2_kernelILi128ELi8ELi1EPKdPKS1_PKPdEvbiT2_T3_lllS8_lllT4_llli.num_named_barrier, 0
	.set _ZL19rocblas_syr2_kernelILi128ELi8ELi1EPKdPKS1_PKPdEvbiT2_T3_lllS8_lllT4_llli.private_seg_size, 0
	.set _ZL19rocblas_syr2_kernelILi128ELi8ELi1EPKdPKS1_PKPdEvbiT2_T3_lllS8_lllT4_llli.uses_vcc, 1
	.set _ZL19rocblas_syr2_kernelILi128ELi8ELi1EPKdPKS1_PKPdEvbiT2_T3_lllS8_lllT4_llli.uses_flat_scratch, 0
	.set _ZL19rocblas_syr2_kernelILi128ELi8ELi1EPKdPKS1_PKPdEvbiT2_T3_lllS8_lllT4_llli.has_dyn_sized_stack, 0
	.set _ZL19rocblas_syr2_kernelILi128ELi8ELi1EPKdPKS1_PKPdEvbiT2_T3_lllS8_lllT4_llli.has_recursion, 0
	.set _ZL19rocblas_syr2_kernelILi128ELi8ELi1EPKdPKS1_PKPdEvbiT2_T3_lllS8_lllT4_llli.has_indirect_call, 0
	.section	.AMDGPU.csdata,"",@progbits
; Kernel info:
; codeLenInByte = 724
; TotalNumSgprs: 34
; NumVgprs: 19
; ScratchSize: 0
; MemoryBound: 0
; FloatMode: 240
; IeeeMode: 1
; LDSByteSize: 0 bytes/workgroup (compile time only)
; SGPRBlocks: 4
; VGPRBlocks: 4
; NumSGPRsForWavesPerEU: 34
; NumVGPRsForWavesPerEU: 19
; Occupancy: 10
; WaveLimiterHint : 1
; COMPUTE_PGM_RSRC2:SCRATCH_EN: 0
; COMPUTE_PGM_RSRC2:USER_SGPR: 6
; COMPUTE_PGM_RSRC2:TRAP_HANDLER: 0
; COMPUTE_PGM_RSRC2:TGID_X_EN: 1
; COMPUTE_PGM_RSRC2:TGID_Y_EN: 1
; COMPUTE_PGM_RSRC2:TGID_Z_EN: 1
; COMPUTE_PGM_RSRC2:TIDIG_COMP_CNT: 1
	.section	.text._ZL19rocblas_syr2_kernelILi128ELi8ELi1EdPKPKdPKPdEvbiT2_T3_lllS8_lllT4_llli,"axG",@progbits,_ZL19rocblas_syr2_kernelILi128ELi8ELi1EdPKPKdPKPdEvbiT2_T3_lllS8_lllT4_llli,comdat
	.globl	_ZL19rocblas_syr2_kernelILi128ELi8ELi1EdPKPKdPKPdEvbiT2_T3_lllS8_lllT4_llli ; -- Begin function _ZL19rocblas_syr2_kernelILi128ELi8ELi1EdPKPKdPKPdEvbiT2_T3_lllS8_lllT4_llli
	.p2align	8
	.type	_ZL19rocblas_syr2_kernelILi128ELi8ELi1EdPKPKdPKPdEvbiT2_T3_lllS8_lllT4_llli,@function
_ZL19rocblas_syr2_kernelILi128ELi8ELi1EdPKPKdPKPdEvbiT2_T3_lllS8_lllT4_llli: ; @_ZL19rocblas_syr2_kernelILi128ELi8ELi1EdPKPKdPKPdEvbiT2_T3_lllS8_lllT4_llli
; %bb.0:
	s_load_dwordx2 s[0:1], s[4:5], 0x84
	s_load_dwordx8 s[12:19], s[4:5], 0x8
	s_mov_b64 s[24:25], 0
	s_waitcnt lgkmcnt(0)
	s_lshr_b32 s9, s0, 16
	v_cmp_eq_f64_e64 s[2:3], s[12:13], 0
	s_and_b32 s0, s0, 0xffff
	s_and_b32 s1, s1, 0xffff
	s_mul_i32 s0, s9, s0
	s_mul_i32 s0, s0, s1
	s_cmpk_lg_i32 s0, 0x400
	s_cselect_b64 s[0:1], -1, 0
	s_or_b64 s[0:1], s[2:3], s[0:1]
	s_and_b64 vcc, exec, s[0:1]
	s_cbranch_vccnz .LBB11_5
; %bb.1:
	s_load_dwordx2 s[26:27], s[4:5], 0x0
	s_load_dwordx4 s[0:3], s[4:5], 0x50
	s_load_dwordx4 s[20:23], s[4:5], 0x30
	s_mov_b32 s9, 0
	s_lshl_b64 s[28:29], s[8:9], 3
	s_waitcnt lgkmcnt(0)
	s_and_b32 s26, s26, 1
	s_add_u32 s8, s0, s28
	s_addc_u32 s9, s1, s29
	s_add_u32 s10, s14, s28
	s_addc_u32 s11, s15, s29
	;; [unrolled: 2-line block ×3, first 2 shown]
	s_cmp_eq_u32 s26, 0
	v_lshl_add_u32 v0, s6, 7, v0
	v_lshl_add_u32 v1, s7, 3, v1
	s_mov_b64 s[0:1], -1
	s_cbranch_scc1 .LBB11_6
; %bb.2:
	s_andn2_b64 vcc, exec, s[0:1]
	s_cbranch_vccz .LBB11_7
.LBB11_3:
	s_and_saveexec_b64 s[0:1], s[24:25]
	s_cbranch_execz .LBB11_5
.LBB11_4:
	s_load_dwordx2 s[0:1], s[4:5], 0x60
	s_load_dwordx2 s[6:7], s[8:9], 0x0
	;; [unrolled: 1-line block ×5, first 2 shown]
	s_waitcnt lgkmcnt(0)
	s_lshl_b64 s[0:1], s[0:1], 3
	s_add_u32 s4, s6, s0
	s_addc_u32 s5, s7, s1
	s_lshl_b64 s[0:1], s[16:17], 3
	s_add_u32 s6, s24, s0
	s_addc_u32 s7, s25, s1
	s_lshl_b64 s[0:1], s[22:23], 3
	s_add_u32 s8, s26, s0
	v_ashrrev_i32_e32 v6, 31, v1
	s_addc_u32 s9, s27, s1
	v_mul_lo_u32 v9, s19, v1
	v_mul_lo_u32 v10, s18, v6
	v_mad_u64_u32 v[4:5], s[0:1], s18, v1, 0
	v_mul_lo_u32 v7, s21, v1
	v_mul_lo_u32 v8, s20, v6
	v_mad_u64_u32 v[2:3], s[0:1], s20, v1, 0
	v_add3_u32 v5, v5, v10, v9
	v_lshlrev_b64 v[4:5], 3, v[4:5]
	v_add3_u32 v3, v3, v8, v7
	v_mov_b32_e32 v7, s7
	v_add_co_u32_e32 v4, vcc, s6, v4
	v_addc_co_u32_e32 v5, vcc, v7, v5, vcc
	v_mul_lo_u32 v17, s3, v1
	v_mul_lo_u32 v18, s2, v6
	v_mad_u64_u32 v[6:7], s[0:1], s2, v1, 0
	v_ashrrev_i32_e32 v1, 31, v0
	v_mul_lo_u32 v14, s21, v0
	v_mul_lo_u32 v15, s20, v1
	v_mad_u64_u32 v[10:11], s[0:1], s20, v0, 0
	v_mul_lo_u32 v12, s19, v0
	v_mul_lo_u32 v13, s18, v1
	v_mad_u64_u32 v[8:9], s[0:1], s18, v0, 0
	v_add3_u32 v11, v11, v15, v14
	v_lshlrev_b64 v[10:11], 3, v[10:11]
	v_add3_u32 v9, v9, v13, v12
	v_mov_b32_e32 v13, s9
	v_add_co_u32_e32 v10, vcc, s8, v10
	v_addc_co_u32_e32 v11, vcc, v13, v11, vcc
	flat_load_dwordx2 v[10:11], v[10:11]
	v_lshlrev_b64 v[8:9], 3, v[8:9]
	v_mov_b32_e32 v12, s7
	v_add_co_u32_e32 v8, vcc, s6, v8
	v_addc_co_u32_e32 v9, vcc, v12, v9, vcc
	flat_load_dwordx2 v[12:13], v[8:9]
	flat_load_dwordx2 v[14:15], v[4:5]
	v_lshlrev_b64 v[2:3], 3, v[2:3]
	v_mov_b32_e32 v16, s9
	v_add_co_u32_e32 v2, vcc, s8, v2
	v_addc_co_u32_e32 v3, vcc, v16, v3, vcc
	flat_load_dwordx2 v[2:3], v[2:3]
	v_add3_u32 v7, v7, v18, v17
	v_lshlrev_b64 v[4:5], 3, v[6:7]
	v_mov_b32_e32 v6, s5
	v_add_co_u32_e32 v4, vcc, s4, v4
	v_lshlrev_b64 v[0:1], 3, v[0:1]
	v_addc_co_u32_e32 v5, vcc, v6, v5, vcc
	v_add_co_u32_e32 v0, vcc, v4, v0
	v_addc_co_u32_e32 v1, vcc, v5, v1, vcc
	flat_load_dwordx2 v[4:5], v[0:1]
	s_waitcnt vmcnt(0) lgkmcnt(0)
	v_mul_f64 v[6:7], s[12:13], v[10:11]
	v_mul_f64 v[8:9], s[12:13], v[12:13]
	v_mul_f64 v[6:7], v[6:7], v[14:15]
	v_fma_f64 v[2:3], v[8:9], v[2:3], v[6:7]
	v_add_f64 v[2:3], v[4:5], v[2:3]
	flat_store_dwordx2 v[0:1], v[2:3]
.LBB11_5:
	s_endpgm
.LBB11_6:
	v_cmp_gt_i32_e32 vcc, s27, v0
	v_cmp_le_i32_e64 s[0:1], v1, v0
	s_and_b64 s[6:7], s[0:1], vcc
	s_and_b64 s[24:25], s[6:7], exec
	s_cbranch_execnz .LBB11_3
.LBB11_7:
	v_cmp_gt_i32_e32 vcc, s27, v1
	v_cmp_le_i32_e64 s[0:1], v0, v1
	s_and_b64 s[0:1], s[0:1], vcc
	s_andn2_b64 s[6:7], s[24:25], exec
	s_and_b64 s[0:1], s[0:1], exec
	s_or_b64 s[24:25], s[6:7], s[0:1]
	s_and_saveexec_b64 s[0:1], s[24:25]
	s_cbranch_execnz .LBB11_4
	s_branch .LBB11_5
	.section	.rodata,"a",@progbits
	.p2align	6, 0x0
	.amdhsa_kernel _ZL19rocblas_syr2_kernelILi128ELi8ELi1EdPKPKdPKPdEvbiT2_T3_lllS8_lllT4_llli
		.amdhsa_group_segment_fixed_size 0
		.amdhsa_private_segment_fixed_size 0
		.amdhsa_kernarg_size 376
		.amdhsa_user_sgpr_count 6
		.amdhsa_user_sgpr_private_segment_buffer 1
		.amdhsa_user_sgpr_dispatch_ptr 0
		.amdhsa_user_sgpr_queue_ptr 0
		.amdhsa_user_sgpr_kernarg_segment_ptr 1
		.amdhsa_user_sgpr_dispatch_id 0
		.amdhsa_user_sgpr_flat_scratch_init 0
		.amdhsa_user_sgpr_private_segment_size 0
		.amdhsa_uses_dynamic_stack 0
		.amdhsa_system_sgpr_private_segment_wavefront_offset 0
		.amdhsa_system_sgpr_workgroup_id_x 1
		.amdhsa_system_sgpr_workgroup_id_y 1
		.amdhsa_system_sgpr_workgroup_id_z 1
		.amdhsa_system_sgpr_workgroup_info 0
		.amdhsa_system_vgpr_workitem_id 1
		.amdhsa_next_free_vgpr 19
		.amdhsa_next_free_sgpr 30
		.amdhsa_reserve_vcc 1
		.amdhsa_reserve_flat_scratch 0
		.amdhsa_float_round_mode_32 0
		.amdhsa_float_round_mode_16_64 0
		.amdhsa_float_denorm_mode_32 3
		.amdhsa_float_denorm_mode_16_64 3
		.amdhsa_dx10_clamp 1
		.amdhsa_ieee_mode 1
		.amdhsa_fp16_overflow 0
		.amdhsa_exception_fp_ieee_invalid_op 0
		.amdhsa_exception_fp_denorm_src 0
		.amdhsa_exception_fp_ieee_div_zero 0
		.amdhsa_exception_fp_ieee_overflow 0
		.amdhsa_exception_fp_ieee_underflow 0
		.amdhsa_exception_fp_ieee_inexact 0
		.amdhsa_exception_int_div_zero 0
	.end_amdhsa_kernel
	.section	.text._ZL19rocblas_syr2_kernelILi128ELi8ELi1EdPKPKdPKPdEvbiT2_T3_lllS8_lllT4_llli,"axG",@progbits,_ZL19rocblas_syr2_kernelILi128ELi8ELi1EdPKPKdPKPdEvbiT2_T3_lllS8_lllT4_llli,comdat
.Lfunc_end11:
	.size	_ZL19rocblas_syr2_kernelILi128ELi8ELi1EdPKPKdPKPdEvbiT2_T3_lllS8_lllT4_llli, .Lfunc_end11-_ZL19rocblas_syr2_kernelILi128ELi8ELi1EdPKPKdPKPdEvbiT2_T3_lllS8_lllT4_llli
                                        ; -- End function
	.set _ZL19rocblas_syr2_kernelILi128ELi8ELi1EdPKPKdPKPdEvbiT2_T3_lllS8_lllT4_llli.num_vgpr, 19
	.set _ZL19rocblas_syr2_kernelILi128ELi8ELi1EdPKPKdPKPdEvbiT2_T3_lllS8_lllT4_llli.num_agpr, 0
	.set _ZL19rocblas_syr2_kernelILi128ELi8ELi1EdPKPKdPKPdEvbiT2_T3_lllS8_lllT4_llli.numbered_sgpr, 30
	.set _ZL19rocblas_syr2_kernelILi128ELi8ELi1EdPKPKdPKPdEvbiT2_T3_lllS8_lllT4_llli.num_named_barrier, 0
	.set _ZL19rocblas_syr2_kernelILi128ELi8ELi1EdPKPKdPKPdEvbiT2_T3_lllS8_lllT4_llli.private_seg_size, 0
	.set _ZL19rocblas_syr2_kernelILi128ELi8ELi1EdPKPKdPKPdEvbiT2_T3_lllS8_lllT4_llli.uses_vcc, 1
	.set _ZL19rocblas_syr2_kernelILi128ELi8ELi1EdPKPKdPKPdEvbiT2_T3_lllS8_lllT4_llli.uses_flat_scratch, 0
	.set _ZL19rocblas_syr2_kernelILi128ELi8ELi1EdPKPKdPKPdEvbiT2_T3_lllS8_lllT4_llli.has_dyn_sized_stack, 0
	.set _ZL19rocblas_syr2_kernelILi128ELi8ELi1EdPKPKdPKPdEvbiT2_T3_lllS8_lllT4_llli.has_recursion, 0
	.set _ZL19rocblas_syr2_kernelILi128ELi8ELi1EdPKPKdPKPdEvbiT2_T3_lllS8_lllT4_llli.has_indirect_call, 0
	.section	.AMDGPU.csdata,"",@progbits
; Kernel info:
; codeLenInByte = 712
; TotalNumSgprs: 34
; NumVgprs: 19
; ScratchSize: 0
; MemoryBound: 0
; FloatMode: 240
; IeeeMode: 1
; LDSByteSize: 0 bytes/workgroup (compile time only)
; SGPRBlocks: 4
; VGPRBlocks: 4
; NumSGPRsForWavesPerEU: 34
; NumVGPRsForWavesPerEU: 19
; Occupancy: 10
; WaveLimiterHint : 1
; COMPUTE_PGM_RSRC2:SCRATCH_EN: 0
; COMPUTE_PGM_RSRC2:USER_SGPR: 6
; COMPUTE_PGM_RSRC2:TRAP_HANDLER: 0
; COMPUTE_PGM_RSRC2:TGID_X_EN: 1
; COMPUTE_PGM_RSRC2:TGID_Y_EN: 1
; COMPUTE_PGM_RSRC2:TGID_Z_EN: 1
; COMPUTE_PGM_RSRC2:TIDIG_COMP_CNT: 1
	.section	.text._ZL19rocblas_syr2_kernelILi128ELi8ELi1EPK19rocblas_complex_numIfEPKS3_PKPS1_EvbiT2_T3_lllSA_lllT4_llli,"axG",@progbits,_ZL19rocblas_syr2_kernelILi128ELi8ELi1EPK19rocblas_complex_numIfEPKS3_PKPS1_EvbiT2_T3_lllSA_lllT4_llli,comdat
	.globl	_ZL19rocblas_syr2_kernelILi128ELi8ELi1EPK19rocblas_complex_numIfEPKS3_PKPS1_EvbiT2_T3_lllSA_lllT4_llli ; -- Begin function _ZL19rocblas_syr2_kernelILi128ELi8ELi1EPK19rocblas_complex_numIfEPKS3_PKPS1_EvbiT2_T3_lllSA_lllT4_llli
	.p2align	8
	.type	_ZL19rocblas_syr2_kernelILi128ELi8ELi1EPK19rocblas_complex_numIfEPKS3_PKPS1_EvbiT2_T3_lllSA_lllT4_llli,@function
_ZL19rocblas_syr2_kernelILi128ELi8ELi1EPK19rocblas_complex_numIfEPKS3_PKPS1_EvbiT2_T3_lllSA_lllT4_llli: ; @_ZL19rocblas_syr2_kernelILi128ELi8ELi1EPK19rocblas_complex_numIfEPKS3_PKPS1_EvbiT2_T3_lllSA_lllT4_llli
; %bb.0:
	s_load_dwordx2 s[0:1], s[4:5], 0x84
	s_waitcnt lgkmcnt(0)
	s_lshr_b32 s2, s0, 16
	s_and_b32 s0, s0, 0xffff
	s_and_b32 s1, s1, 0xffff
	s_mul_i32 s0, s2, s0
	s_mul_i32 s0, s0, s1
	s_cmpk_lg_i32 s0, 0x400
	s_cbranch_scc1 .LBB12_8
; %bb.1:
	s_load_dwordx8 s[12:19], s[4:5], 0x8
	s_mov_b32 s9, 0
	s_waitcnt lgkmcnt(0)
	s_load_dwordx2 s[10:11], s[12:13], 0x0
	s_waitcnt lgkmcnt(0)
	v_cmp_neq_f32_e64 s[0:1], s10, 0
	v_cmp_neq_f32_e64 s[2:3], s11, 0
	s_or_b64 s[0:1], s[0:1], s[2:3]
	s_andn2_b64 vcc, exec, s[0:1]
	s_cbranch_vccnz .LBB12_8
; %bb.2:
	s_load_dwordx2 s[24:25], s[4:5], 0x0
	s_load_dwordx4 s[0:3], s[4:5], 0x50
	s_load_dwordx4 s[20:23], s[4:5], 0x30
	s_lshl_b64 s[26:27], s[8:9], 3
	v_lshl_add_u32 v0, s6, 7, v0
	s_waitcnt lgkmcnt(0)
	s_and_b32 s24, s24, 1
	s_add_u32 s8, s0, s26
	s_addc_u32 s9, s1, s27
	s_add_u32 s12, s14, s26
	s_addc_u32 s13, s15, s27
	;; [unrolled: 2-line block ×3, first 2 shown]
	s_cmp_eq_u32 s24, 0
	v_lshl_add_u32 v1, s7, 3, v1
	s_cbranch_scc0 .LBB12_4
; %bb.3:
	v_cmp_gt_i32_e32 vcc, s25, v0
	v_cmp_le_i32_e64 s[0:1], v1, v0
	s_and_b64 s[6:7], s[0:1], vcc
	s_and_b64 s[6:7], s[6:7], exec
	s_cbranch_execz .LBB12_5
	s_branch .LBB12_6
.LBB12_4:
	s_mov_b64 s[6:7], 0
.LBB12_5:
	v_cmp_gt_i32_e32 vcc, s25, v1
	v_cmp_le_i32_e64 s[0:1], v0, v1
	s_and_b64 s[0:1], s[0:1], vcc
	s_andn2_b64 s[6:7], s[6:7], exec
	s_and_b64 s[0:1], s[0:1], exec
	s_or_b64 s[6:7], s[6:7], s[0:1]
.LBB12_6:
	s_and_saveexec_b64 s[0:1], s[6:7]
	s_cbranch_execz .LBB12_8
; %bb.7:
	s_load_dwordx2 s[0:1], s[4:5], 0x60
	s_load_dwordx2 s[6:7], s[8:9], 0x0
	;; [unrolled: 1-line block ×5, first 2 shown]
	s_waitcnt lgkmcnt(0)
	s_lshl_b64 s[0:1], s[0:1], 3
	s_add_u32 s4, s6, s0
	s_addc_u32 s5, s7, s1
	s_lshl_b64 s[0:1], s[16:17], 3
	s_add_u32 s6, s24, s0
	v_ashrrev_i32_e32 v6, 31, v1
	s_addc_u32 s7, s25, s1
	v_mul_lo_u32 v4, s21, v1
	v_mul_lo_u32 v5, s20, v6
	v_mad_u64_u32 v[2:3], s[0:1], s20, v1, 0
	s_lshl_b64 s[0:1], s[22:23], 3
	s_add_u32 s8, s26, s0
	v_add3_u32 v3, v3, v5, v4
	s_addc_u32 s9, s27, s1
	v_lshlrev_b64 v[2:3], 3, v[2:3]
	v_mul_lo_u32 v8, s19, v1
	v_mul_lo_u32 v9, s18, v6
	v_mad_u64_u32 v[4:5], s[0:1], s18, v1, 0
	v_mov_b32_e32 v7, s9
	v_add_co_u32_e32 v2, vcc, s8, v2
	v_addc_co_u32_e32 v3, vcc, v7, v3, vcc
	v_mul_lo_u32 v11, s3, v1
	v_mul_lo_u32 v12, s2, v6
	v_mad_u64_u32 v[6:7], s[0:1], s2, v1, 0
	v_ashrrev_i32_e32 v1, 31, v0
	v_add3_u32 v5, v5, v9, v8
	v_mul_lo_u32 v13, s19, v0
	v_mul_lo_u32 v14, s18, v1
	v_mad_u64_u32 v[8:9], s[0:1], s18, v0, 0
	v_lshlrev_b64 v[4:5], 3, v[4:5]
	v_mov_b32_e32 v10, s7
	v_add_co_u32_e32 v4, vcc, s6, v4
	v_addc_co_u32_e32 v5, vcc, v10, v5, vcc
	v_add3_u32 v7, v7, v12, v11
	v_add3_u32 v9, v9, v14, v13
	v_mul_lo_u32 v16, s21, v0
	v_mul_lo_u32 v17, s20, v1
	v_mad_u64_u32 v[10:11], s[0:1], s20, v0, 0
	v_lshlrev_b64 v[8:9], 3, v[8:9]
	v_mov_b32_e32 v12, s7
	v_add_co_u32_e32 v8, vcc, s6, v8
	v_addc_co_u32_e32 v9, vcc, v12, v9, vcc
	v_add3_u32 v11, v11, v17, v16
	flat_load_dwordx2 v[12:13], v[8:9]
	flat_load_dwordx2 v[14:15], v[2:3]
	v_lshlrev_b64 v[2:3], 3, v[10:11]
	v_mov_b32_e32 v8, s9
	v_add_co_u32_e32 v2, vcc, s8, v2
	v_lshlrev_b64 v[6:7], 3, v[6:7]
	v_addc_co_u32_e32 v3, vcc, v8, v3, vcc
	flat_load_dwordx2 v[2:3], v[2:3]
	v_mov_b32_e32 v8, s5
	v_add_co_u32_e32 v6, vcc, s4, v6
	v_lshlrev_b64 v[0:1], 3, v[0:1]
	v_addc_co_u32_e32 v7, vcc, v8, v7, vcc
	flat_load_dwordx2 v[4:5], v[4:5]
	v_add_co_u32_e32 v0, vcc, v6, v0
	v_addc_co_u32_e32 v1, vcc, v7, v1, vcc
	flat_load_dwordx2 v[6:7], v[0:1]
	s_waitcnt vmcnt(0) lgkmcnt(0)
	v_mul_f32_e32 v9, s10, v13
	v_mul_f32_e32 v8, s11, v13
	v_fmac_f32_e32 v9, s11, v12
	v_fma_f32 v8, s10, v12, -v8
	v_mul_f32_e32 v10, v15, v9
	v_mul_f32_e32 v9, v14, v9
	v_fma_f32 v10, v14, v8, -v10
	v_fmac_f32_e32 v9, v15, v8
	v_mul_f32_e32 v11, s11, v3
	v_mul_f32_e32 v3, s10, v3
	v_fmac_f32_e32 v3, s11, v2
	v_fma_f32 v8, s10, v2, -v11
	v_mul_f32_e32 v2, v5, v3
	v_mul_f32_e32 v3, v4, v3
	v_fma_f32 v2, v4, v8, -v2
	v_fmac_f32_e32 v3, v5, v8
	v_add_f32_e32 v2, v10, v2
	v_add_f32_e32 v3, v9, v3
	;; [unrolled: 1-line block ×4, first 2 shown]
	flat_store_dwordx2 v[0:1], v[2:3]
.LBB12_8:
	s_endpgm
	.section	.rodata,"a",@progbits
	.p2align	6, 0x0
	.amdhsa_kernel _ZL19rocblas_syr2_kernelILi128ELi8ELi1EPK19rocblas_complex_numIfEPKS3_PKPS1_EvbiT2_T3_lllSA_lllT4_llli
		.amdhsa_group_segment_fixed_size 0
		.amdhsa_private_segment_fixed_size 0
		.amdhsa_kernarg_size 376
		.amdhsa_user_sgpr_count 6
		.amdhsa_user_sgpr_private_segment_buffer 1
		.amdhsa_user_sgpr_dispatch_ptr 0
		.amdhsa_user_sgpr_queue_ptr 0
		.amdhsa_user_sgpr_kernarg_segment_ptr 1
		.amdhsa_user_sgpr_dispatch_id 0
		.amdhsa_user_sgpr_flat_scratch_init 0
		.amdhsa_user_sgpr_private_segment_size 0
		.amdhsa_uses_dynamic_stack 0
		.amdhsa_system_sgpr_private_segment_wavefront_offset 0
		.amdhsa_system_sgpr_workgroup_id_x 1
		.amdhsa_system_sgpr_workgroup_id_y 1
		.amdhsa_system_sgpr_workgroup_id_z 1
		.amdhsa_system_sgpr_workgroup_info 0
		.amdhsa_system_vgpr_workitem_id 1
		.amdhsa_next_free_vgpr 18
		.amdhsa_next_free_sgpr 28
		.amdhsa_reserve_vcc 1
		.amdhsa_reserve_flat_scratch 0
		.amdhsa_float_round_mode_32 0
		.amdhsa_float_round_mode_16_64 0
		.amdhsa_float_denorm_mode_32 3
		.amdhsa_float_denorm_mode_16_64 3
		.amdhsa_dx10_clamp 1
		.amdhsa_ieee_mode 1
		.amdhsa_fp16_overflow 0
		.amdhsa_exception_fp_ieee_invalid_op 0
		.amdhsa_exception_fp_denorm_src 0
		.amdhsa_exception_fp_ieee_div_zero 0
		.amdhsa_exception_fp_ieee_overflow 0
		.amdhsa_exception_fp_ieee_underflow 0
		.amdhsa_exception_fp_ieee_inexact 0
		.amdhsa_exception_int_div_zero 0
	.end_amdhsa_kernel
	.section	.text._ZL19rocblas_syr2_kernelILi128ELi8ELi1EPK19rocblas_complex_numIfEPKS3_PKPS1_EvbiT2_T3_lllSA_lllT4_llli,"axG",@progbits,_ZL19rocblas_syr2_kernelILi128ELi8ELi1EPK19rocblas_complex_numIfEPKS3_PKPS1_EvbiT2_T3_lllSA_lllT4_llli,comdat
.Lfunc_end12:
	.size	_ZL19rocblas_syr2_kernelILi128ELi8ELi1EPK19rocblas_complex_numIfEPKS3_PKPS1_EvbiT2_T3_lllSA_lllT4_llli, .Lfunc_end12-_ZL19rocblas_syr2_kernelILi128ELi8ELi1EPK19rocblas_complex_numIfEPKS3_PKPS1_EvbiT2_T3_lllSA_lllT4_llli
                                        ; -- End function
	.set _ZL19rocblas_syr2_kernelILi128ELi8ELi1EPK19rocblas_complex_numIfEPKS3_PKPS1_EvbiT2_T3_lllSA_lllT4_llli.num_vgpr, 18
	.set _ZL19rocblas_syr2_kernelILi128ELi8ELi1EPK19rocblas_complex_numIfEPKS3_PKPS1_EvbiT2_T3_lllSA_lllT4_llli.num_agpr, 0
	.set _ZL19rocblas_syr2_kernelILi128ELi8ELi1EPK19rocblas_complex_numIfEPKS3_PKPS1_EvbiT2_T3_lllSA_lllT4_llli.numbered_sgpr, 28
	.set _ZL19rocblas_syr2_kernelILi128ELi8ELi1EPK19rocblas_complex_numIfEPKS3_PKPS1_EvbiT2_T3_lllSA_lllT4_llli.num_named_barrier, 0
	.set _ZL19rocblas_syr2_kernelILi128ELi8ELi1EPK19rocblas_complex_numIfEPKS3_PKPS1_EvbiT2_T3_lllSA_lllT4_llli.private_seg_size, 0
	.set _ZL19rocblas_syr2_kernelILi128ELi8ELi1EPK19rocblas_complex_numIfEPKS3_PKPS1_EvbiT2_T3_lllSA_lllT4_llli.uses_vcc, 1
	.set _ZL19rocblas_syr2_kernelILi128ELi8ELi1EPK19rocblas_complex_numIfEPKS3_PKPS1_EvbiT2_T3_lllSA_lllT4_llli.uses_flat_scratch, 0
	.set _ZL19rocblas_syr2_kernelILi128ELi8ELi1EPK19rocblas_complex_numIfEPKS3_PKPS1_EvbiT2_T3_lllSA_lllT4_llli.has_dyn_sized_stack, 0
	.set _ZL19rocblas_syr2_kernelILi128ELi8ELi1EPK19rocblas_complex_numIfEPKS3_PKPS1_EvbiT2_T3_lllSA_lllT4_llli.has_recursion, 0
	.set _ZL19rocblas_syr2_kernelILi128ELi8ELi1EPK19rocblas_complex_numIfEPKS3_PKPS1_EvbiT2_T3_lllSA_lllT4_llli.has_indirect_call, 0
	.section	.AMDGPU.csdata,"",@progbits
; Kernel info:
; codeLenInByte = 772
; TotalNumSgprs: 32
; NumVgprs: 18
; ScratchSize: 0
; MemoryBound: 0
; FloatMode: 240
; IeeeMode: 1
; LDSByteSize: 0 bytes/workgroup (compile time only)
; SGPRBlocks: 3
; VGPRBlocks: 4
; NumSGPRsForWavesPerEU: 32
; NumVGPRsForWavesPerEU: 18
; Occupancy: 10
; WaveLimiterHint : 1
; COMPUTE_PGM_RSRC2:SCRATCH_EN: 0
; COMPUTE_PGM_RSRC2:USER_SGPR: 6
; COMPUTE_PGM_RSRC2:TRAP_HANDLER: 0
; COMPUTE_PGM_RSRC2:TGID_X_EN: 1
; COMPUTE_PGM_RSRC2:TGID_Y_EN: 1
; COMPUTE_PGM_RSRC2:TGID_Z_EN: 1
; COMPUTE_PGM_RSRC2:TIDIG_COMP_CNT: 1
	.section	.text._ZL19rocblas_syr2_kernelILi128ELi8ELi1E19rocblas_complex_numIfEPKPKS1_PKPS1_EvbiT2_T3_lllSA_lllT4_llli,"axG",@progbits,_ZL19rocblas_syr2_kernelILi128ELi8ELi1E19rocblas_complex_numIfEPKPKS1_PKPS1_EvbiT2_T3_lllSA_lllT4_llli,comdat
	.globl	_ZL19rocblas_syr2_kernelILi128ELi8ELi1E19rocblas_complex_numIfEPKPKS1_PKPS1_EvbiT2_T3_lllSA_lllT4_llli ; -- Begin function _ZL19rocblas_syr2_kernelILi128ELi8ELi1E19rocblas_complex_numIfEPKPKS1_PKPS1_EvbiT2_T3_lllSA_lllT4_llli
	.p2align	8
	.type	_ZL19rocblas_syr2_kernelILi128ELi8ELi1E19rocblas_complex_numIfEPKPKS1_PKPS1_EvbiT2_T3_lllSA_lllT4_llli,@function
_ZL19rocblas_syr2_kernelILi128ELi8ELi1E19rocblas_complex_numIfEPKPKS1_PKPS1_EvbiT2_T3_lllSA_lllT4_llli: ; @_ZL19rocblas_syr2_kernelILi128ELi8ELi1E19rocblas_complex_numIfEPKPKS1_PKPS1_EvbiT2_T3_lllSA_lllT4_llli
; %bb.0:
	s_load_dwordx2 s[0:1], s[4:5], 0x84
	s_waitcnt lgkmcnt(0)
	s_lshr_b32 s2, s0, 16
	s_and_b32 s0, s0, 0xffff
	s_and_b32 s1, s1, 0xffff
	s_mul_i32 s0, s2, s0
	s_mul_i32 s0, s0, s1
	s_cmpk_lg_i32 s0, 0x400
	s_cbranch_scc1 .LBB13_8
; %bb.1:
	s_load_dwordx2 s[10:11], s[4:5], 0x8
	s_mov_b32 s9, 0
	s_waitcnt lgkmcnt(0)
	v_cmp_neq_f32_e64 s[0:1], s10, 0
	v_cmp_neq_f32_e64 s[2:3], s11, 0
	s_or_b64 s[0:1], s[0:1], s[2:3]
	s_andn2_b64 vcc, exec, s[0:1]
	s_cbranch_vccnz .LBB13_8
; %bb.2:
	s_load_dwordx2 s[20:21], s[4:5], 0x0
	s_load_dwordx4 s[0:3], s[4:5], 0x50
	s_load_dwordx4 s[12:15], s[4:5], 0x30
	s_load_dwordx4 s[16:19], s[4:5], 0x10
	s_lshl_b64 s[22:23], s[8:9], 3
	s_waitcnt lgkmcnt(0)
	s_and_b32 s20, s20, 1
	s_add_u32 s8, s0, s22
	s_addc_u32 s9, s1, s23
	s_add_u32 s16, s16, s22
	s_addc_u32 s17, s17, s23
	;; [unrolled: 2-line block ×3, first 2 shown]
	s_cmp_eq_u32 s20, 0
	v_lshl_add_u32 v0, s6, 7, v0
	v_lshl_add_u32 v1, s7, 3, v1
	s_cbranch_scc0 .LBB13_4
; %bb.3:
	v_cmp_gt_i32_e32 vcc, s21, v0
	v_cmp_le_i32_e64 s[0:1], v1, v0
	s_and_b64 s[6:7], s[0:1], vcc
	s_and_b64 s[6:7], s[6:7], exec
	s_cbranch_execz .LBB13_5
	s_branch .LBB13_6
.LBB13_4:
	s_mov_b64 s[6:7], 0
.LBB13_5:
	v_cmp_gt_i32_e32 vcc, s21, v1
	v_cmp_le_i32_e64 s[0:1], v0, v1
	s_and_b64 s[0:1], s[0:1], vcc
	s_andn2_b64 s[6:7], s[6:7], exec
	s_and_b64 s[0:1], s[0:1], exec
	s_or_b64 s[6:7], s[6:7], s[0:1]
.LBB13_6:
	s_and_saveexec_b64 s[0:1], s[6:7]
	s_cbranch_execz .LBB13_8
; %bb.7:
	s_load_dwordx2 s[0:1], s[8:9], 0x0
	s_load_dwordx2 s[6:7], s[4:5], 0x60
	;; [unrolled: 1-line block ×6, first 2 shown]
	s_waitcnt lgkmcnt(0)
	s_lshl_b64 s[4:5], s[6:7], 3
	s_add_u32 s4, s0, s4
	s_addc_u32 s5, s1, s5
	s_lshl_b64 s[0:1], s[18:19], 3
	s_add_u32 s6, s24, s0
	v_ashrrev_i32_e32 v6, 31, v1
	s_addc_u32 s7, s25, s1
	v_mul_lo_u32 v4, s23, v1
	v_mul_lo_u32 v5, s22, v6
	v_mad_u64_u32 v[2:3], s[0:1], s22, v1, 0
	s_lshl_b64 s[0:1], s[14:15], 3
	s_add_u32 s8, s26, s0
	v_add3_u32 v3, v3, v5, v4
	s_addc_u32 s9, s27, s1
	v_lshlrev_b64 v[2:3], 3, v[2:3]
	v_mul_lo_u32 v8, s21, v1
	v_mul_lo_u32 v9, s20, v6
	v_mad_u64_u32 v[4:5], s[0:1], s20, v1, 0
	v_mov_b32_e32 v7, s9
	v_add_co_u32_e32 v2, vcc, s8, v2
	v_addc_co_u32_e32 v3, vcc, v7, v3, vcc
	v_mul_lo_u32 v11, s3, v1
	v_mul_lo_u32 v12, s2, v6
	v_mad_u64_u32 v[6:7], s[0:1], s2, v1, 0
	v_ashrrev_i32_e32 v1, 31, v0
	v_add3_u32 v5, v5, v9, v8
	v_mul_lo_u32 v13, s21, v0
	v_mul_lo_u32 v14, s20, v1
	v_mad_u64_u32 v[8:9], s[0:1], s20, v0, 0
	v_lshlrev_b64 v[4:5], 3, v[4:5]
	v_mov_b32_e32 v10, s7
	v_add_co_u32_e32 v4, vcc, s6, v4
	v_addc_co_u32_e32 v5, vcc, v10, v5, vcc
	v_add3_u32 v7, v7, v12, v11
	v_add3_u32 v9, v9, v14, v13
	v_mul_lo_u32 v13, s23, v0
	v_mul_lo_u32 v14, s22, v1
	v_mad_u64_u32 v[10:11], s[0:1], s22, v0, 0
	v_lshlrev_b64 v[8:9], 3, v[8:9]
	v_mov_b32_e32 v12, s7
	v_add3_u32 v11, v11, v14, v13
	v_add_co_u32_e32 v8, vcc, s6, v8
	v_lshlrev_b64 v[10:11], 3, v[10:11]
	v_addc_co_u32_e32 v9, vcc, v12, v9, vcc
	v_mov_b32_e32 v12, s9
	v_add_co_u32_e32 v10, vcc, s8, v10
	flat_load_dwordx2 v[8:9], v[8:9]
	v_addc_co_u32_e32 v11, vcc, v12, v11, vcc
	v_lshlrev_b64 v[6:7], 3, v[6:7]
	flat_load_dwordx2 v[10:11], v[10:11]
	v_mov_b32_e32 v12, s5
	flat_load_dwordx2 v[2:3], v[2:3]
	v_add_co_u32_e32 v6, vcc, s4, v6
	v_lshlrev_b64 v[0:1], 3, v[0:1]
	v_addc_co_u32_e32 v7, vcc, v12, v7, vcc
	flat_load_dwordx2 v[4:5], v[4:5]
	v_add_co_u32_e32 v0, vcc, v6, v0
	v_addc_co_u32_e32 v1, vcc, v7, v1, vcc
	flat_load_dwordx2 v[6:7], v[0:1]
	s_waitcnt vmcnt(0) lgkmcnt(0)
	v_mul_f32_e32 v12, s11, v9
	v_mul_f32_e32 v9, s10, v9
	v_fma_f32 v12, s10, v8, -v12
	v_fmac_f32_e32 v9, s11, v8
	v_mul_f32_e32 v8, s11, v11
	v_mul_f32_e32 v11, s10, v11
	;; [unrolled: 1-line block ×4, first 2 shown]
	v_fmac_f32_e32 v11, s11, v10
	v_fma_f32 v8, s10, v10, -v8
	v_fmac_f32_e32 v9, v3, v12
	v_fma_f32 v2, v2, v12, -v13
	v_mul_f32_e32 v3, v5, v11
	v_mul_f32_e32 v10, v4, v11
	v_fma_f32 v3, v4, v8, -v3
	v_fmac_f32_e32 v10, v5, v8
	v_add_f32_e32 v2, v2, v3
	v_add_f32_e32 v3, v9, v10
	;; [unrolled: 1-line block ×4, first 2 shown]
	flat_store_dwordx2 v[0:1], v[2:3]
.LBB13_8:
	s_endpgm
	.section	.rodata,"a",@progbits
	.p2align	6, 0x0
	.amdhsa_kernel _ZL19rocblas_syr2_kernelILi128ELi8ELi1E19rocblas_complex_numIfEPKPKS1_PKPS1_EvbiT2_T3_lllSA_lllT4_llli
		.amdhsa_group_segment_fixed_size 0
		.amdhsa_private_segment_fixed_size 0
		.amdhsa_kernarg_size 376
		.amdhsa_user_sgpr_count 6
		.amdhsa_user_sgpr_private_segment_buffer 1
		.amdhsa_user_sgpr_dispatch_ptr 0
		.amdhsa_user_sgpr_queue_ptr 0
		.amdhsa_user_sgpr_kernarg_segment_ptr 1
		.amdhsa_user_sgpr_dispatch_id 0
		.amdhsa_user_sgpr_flat_scratch_init 0
		.amdhsa_user_sgpr_private_segment_size 0
		.amdhsa_uses_dynamic_stack 0
		.amdhsa_system_sgpr_private_segment_wavefront_offset 0
		.amdhsa_system_sgpr_workgroup_id_x 1
		.amdhsa_system_sgpr_workgroup_id_y 1
		.amdhsa_system_sgpr_workgroup_id_z 1
		.amdhsa_system_sgpr_workgroup_info 0
		.amdhsa_system_vgpr_workitem_id 1
		.amdhsa_next_free_vgpr 15
		.amdhsa_next_free_sgpr 28
		.amdhsa_reserve_vcc 1
		.amdhsa_reserve_flat_scratch 0
		.amdhsa_float_round_mode_32 0
		.amdhsa_float_round_mode_16_64 0
		.amdhsa_float_denorm_mode_32 3
		.amdhsa_float_denorm_mode_16_64 3
		.amdhsa_dx10_clamp 1
		.amdhsa_ieee_mode 1
		.amdhsa_fp16_overflow 0
		.amdhsa_exception_fp_ieee_invalid_op 0
		.amdhsa_exception_fp_denorm_src 0
		.amdhsa_exception_fp_ieee_div_zero 0
		.amdhsa_exception_fp_ieee_overflow 0
		.amdhsa_exception_fp_ieee_underflow 0
		.amdhsa_exception_fp_ieee_inexact 0
		.amdhsa_exception_int_div_zero 0
	.end_amdhsa_kernel
	.section	.text._ZL19rocblas_syr2_kernelILi128ELi8ELi1E19rocblas_complex_numIfEPKPKS1_PKPS1_EvbiT2_T3_lllSA_lllT4_llli,"axG",@progbits,_ZL19rocblas_syr2_kernelILi128ELi8ELi1E19rocblas_complex_numIfEPKPKS1_PKPS1_EvbiT2_T3_lllSA_lllT4_llli,comdat
.Lfunc_end13:
	.size	_ZL19rocblas_syr2_kernelILi128ELi8ELi1E19rocblas_complex_numIfEPKPKS1_PKPS1_EvbiT2_T3_lllSA_lllT4_llli, .Lfunc_end13-_ZL19rocblas_syr2_kernelILi128ELi8ELi1E19rocblas_complex_numIfEPKPKS1_PKPS1_EvbiT2_T3_lllSA_lllT4_llli
                                        ; -- End function
	.set _ZL19rocblas_syr2_kernelILi128ELi8ELi1E19rocblas_complex_numIfEPKPKS1_PKPS1_EvbiT2_T3_lllSA_lllT4_llli.num_vgpr, 15
	.set _ZL19rocblas_syr2_kernelILi128ELi8ELi1E19rocblas_complex_numIfEPKPKS1_PKPS1_EvbiT2_T3_lllSA_lllT4_llli.num_agpr, 0
	.set _ZL19rocblas_syr2_kernelILi128ELi8ELi1E19rocblas_complex_numIfEPKPKS1_PKPS1_EvbiT2_T3_lllSA_lllT4_llli.numbered_sgpr, 28
	.set _ZL19rocblas_syr2_kernelILi128ELi8ELi1E19rocblas_complex_numIfEPKPKS1_PKPS1_EvbiT2_T3_lllSA_lllT4_llli.num_named_barrier, 0
	.set _ZL19rocblas_syr2_kernelILi128ELi8ELi1E19rocblas_complex_numIfEPKPKS1_PKPS1_EvbiT2_T3_lllSA_lllT4_llli.private_seg_size, 0
	.set _ZL19rocblas_syr2_kernelILi128ELi8ELi1E19rocblas_complex_numIfEPKPKS1_PKPS1_EvbiT2_T3_lllSA_lllT4_llli.uses_vcc, 1
	.set _ZL19rocblas_syr2_kernelILi128ELi8ELi1E19rocblas_complex_numIfEPKPKS1_PKPS1_EvbiT2_T3_lllSA_lllT4_llli.uses_flat_scratch, 0
	.set _ZL19rocblas_syr2_kernelILi128ELi8ELi1E19rocblas_complex_numIfEPKPKS1_PKPS1_EvbiT2_T3_lllSA_lllT4_llli.has_dyn_sized_stack, 0
	.set _ZL19rocblas_syr2_kernelILi128ELi8ELi1E19rocblas_complex_numIfEPKPKS1_PKPS1_EvbiT2_T3_lllSA_lllT4_llli.has_recursion, 0
	.set _ZL19rocblas_syr2_kernelILi128ELi8ELi1E19rocblas_complex_numIfEPKPKS1_PKPS1_EvbiT2_T3_lllSA_lllT4_llli.has_indirect_call, 0
	.section	.AMDGPU.csdata,"",@progbits
; Kernel info:
; codeLenInByte = 776
; TotalNumSgprs: 32
; NumVgprs: 15
; ScratchSize: 0
; MemoryBound: 0
; FloatMode: 240
; IeeeMode: 1
; LDSByteSize: 0 bytes/workgroup (compile time only)
; SGPRBlocks: 3
; VGPRBlocks: 3
; NumSGPRsForWavesPerEU: 32
; NumVGPRsForWavesPerEU: 15
; Occupancy: 10
; WaveLimiterHint : 1
; COMPUTE_PGM_RSRC2:SCRATCH_EN: 0
; COMPUTE_PGM_RSRC2:USER_SGPR: 6
; COMPUTE_PGM_RSRC2:TRAP_HANDLER: 0
; COMPUTE_PGM_RSRC2:TGID_X_EN: 1
; COMPUTE_PGM_RSRC2:TGID_Y_EN: 1
; COMPUTE_PGM_RSRC2:TGID_Z_EN: 1
; COMPUTE_PGM_RSRC2:TIDIG_COMP_CNT: 1
	.section	.text._ZL19rocblas_syr2_kernelILi128ELi8ELi1EPK19rocblas_complex_numIdEPKS3_PKPS1_EvbiT2_T3_lllSA_lllT4_llli,"axG",@progbits,_ZL19rocblas_syr2_kernelILi128ELi8ELi1EPK19rocblas_complex_numIdEPKS3_PKPS1_EvbiT2_T3_lllSA_lllT4_llli,comdat
	.globl	_ZL19rocblas_syr2_kernelILi128ELi8ELi1EPK19rocblas_complex_numIdEPKS3_PKPS1_EvbiT2_T3_lllSA_lllT4_llli ; -- Begin function _ZL19rocblas_syr2_kernelILi128ELi8ELi1EPK19rocblas_complex_numIdEPKS3_PKPS1_EvbiT2_T3_lllSA_lllT4_llli
	.p2align	8
	.type	_ZL19rocblas_syr2_kernelILi128ELi8ELi1EPK19rocblas_complex_numIdEPKS3_PKPS1_EvbiT2_T3_lllSA_lllT4_llli,@function
_ZL19rocblas_syr2_kernelILi128ELi8ELi1EPK19rocblas_complex_numIdEPKS3_PKPS1_EvbiT2_T3_lllSA_lllT4_llli: ; @_ZL19rocblas_syr2_kernelILi128ELi8ELi1EPK19rocblas_complex_numIdEPKS3_PKPS1_EvbiT2_T3_lllSA_lllT4_llli
; %bb.0:
	s_load_dwordx2 s[0:1], s[4:5], 0x84
	s_waitcnt lgkmcnt(0)
	s_lshr_b32 s2, s0, 16
	s_and_b32 s0, s0, 0xffff
	s_and_b32 s1, s1, 0xffff
	s_mul_i32 s0, s2, s0
	s_mul_i32 s0, s0, s1
	s_cmpk_lg_i32 s0, 0x400
	s_cbranch_scc1 .LBB14_6
; %bb.1:
	s_load_dwordx8 s[12:19], s[4:5], 0x8
	s_mov_b64 s[28:29], 0
	s_waitcnt lgkmcnt(0)
	s_load_dwordx4 s[20:23], s[12:13], 0x0
	s_waitcnt lgkmcnt(0)
	v_cmp_neq_f64_e64 s[0:1], s[20:21], 0
	v_cmp_neq_f64_e64 s[2:3], s[22:23], 0
	s_or_b64 s[0:1], s[0:1], s[2:3]
	s_andn2_b64 vcc, exec, s[0:1]
	s_cbranch_vccnz .LBB14_6
; %bb.2:
	s_load_dwordx2 s[30:31], s[4:5], 0x0
	s_load_dwordx4 s[0:3], s[4:5], 0x50
	s_load_dwordx4 s[24:27], s[4:5], 0x30
	s_mov_b32 s9, 0
	s_lshl_b64 s[12:13], s[8:9], 3
	s_waitcnt lgkmcnt(0)
	s_and_b32 s30, s30, 1
	s_add_u32 s8, s0, s12
	s_addc_u32 s9, s1, s13
	s_add_u32 s10, s14, s12
	s_addc_u32 s11, s15, s13
	;; [unrolled: 2-line block ×3, first 2 shown]
	s_cmp_eq_u32 s30, 0
	v_lshl_add_u32 v0, s6, 7, v0
	v_lshl_add_u32 v2, s7, 3, v1
	s_mov_b64 s[0:1], -1
	s_cbranch_scc1 .LBB14_7
; %bb.3:
	s_andn2_b64 vcc, exec, s[0:1]
	s_cbranch_vccz .LBB14_8
.LBB14_4:
	s_and_saveexec_b64 s[0:1], s[28:29]
	s_cbranch_execz .LBB14_6
.LBB14_5:
	v_ashrrev_i32_e32 v1, 31, v0
	s_load_dwordx2 s[14:15], s[4:5], 0x60
	s_load_dwordx2 s[24:25], s[8:9], 0x0
	;; [unrolled: 1-line block ×5, first 2 shown]
	v_mul_lo_u32 v5, s19, v0
	v_mul_lo_u32 v6, s18, v1
	v_mad_u64_u32 v[3:4], s[8:9], s18, v0, 0
	s_waitcnt lgkmcnt(0)
	s_lshl_b64 s[4:5], s[14:15], 4
	s_add_u32 s10, s24, s4
	s_addc_u32 s11, s25, s5
	s_lshl_b64 s[4:5], s[16:17], 4
	v_add3_u32 v4, v4, v6, v5
	s_add_u32 s12, s28, s4
	v_lshlrev_b64 v[3:4], 4, v[3:4]
	s_addc_u32 s13, s29, s5
	v_mov_b32_e32 v5, s13
	v_add_co_u32_e32 v3, vcc, s12, v3
	v_addc_co_u32_e32 v4, vcc, v5, v4, vcc
	v_mul_lo_u32 v9, s1, v0
	v_mul_lo_u32 v10, s0, v1
	v_mad_u64_u32 v[7:8], s[8:9], s0, v0, 0
	flat_load_dwordx4 v[3:6], v[3:4]
	s_lshl_b64 s[4:5], s[26:27], 4
	v_add3_u32 v8, v8, v10, v9
	s_add_u32 s6, s6, s4
	v_lshlrev_b64 v[7:8], 4, v[7:8]
	s_addc_u32 s7, s7, s5
	v_mov_b32_e32 v9, s7
	v_add_co_u32_e32 v7, vcc, s6, v7
	v_addc_co_u32_e32 v8, vcc, v9, v8, vcc
	flat_load_dwordx4 v[7:10], v[7:8]
	v_ashrrev_i32_e32 v15, 31, v2
	v_mul_lo_u32 v17, s3, v2
	v_mad_u64_u32 v[13:14], s[4:5], s2, v2, 0
	v_mul_lo_u32 v19, s2, v15
	v_mul_lo_u32 v16, s19, v2
	v_mad_u64_u32 v[11:12], s[4:5], s18, v2, 0
	v_mul_lo_u32 v18, s18, v15
	v_add3_u32 v14, v14, v19, v17
	v_lshlrev_b64 v[13:14], 4, v[13:14]
	v_mul_lo_u32 v20, s0, v15
	v_add3_u32 v12, v12, v18, v16
	v_mul_lo_u32 v18, s1, v2
	v_mad_u64_u32 v[15:16], s[0:1], s0, v2, 0
	v_lshlrev_b64 v[0:1], 4, v[0:1]
	v_mov_b32_e32 v2, s11
	v_add_co_u32_e32 v13, vcc, s10, v13
	v_addc_co_u32_e32 v2, vcc, v2, v14, vcc
	v_lshlrev_b64 v[11:12], 4, v[11:12]
	v_add_co_u32_e32 v17, vcc, v13, v0
	v_add3_u32 v16, v16, v20, v18
	v_addc_co_u32_e32 v18, vcc, v2, v1, vcc
	v_lshlrev_b64 v[15:16], 4, v[15:16]
	v_mov_b32_e32 v14, s13
	v_add_co_u32_e32 v0, vcc, s12, v11
	v_addc_co_u32_e32 v1, vcc, v14, v12, vcc
	v_mov_b32_e32 v2, s7
	flat_load_dwordx4 v[11:14], v[0:1]
	v_add_co_u32_e32 v0, vcc, s6, v15
	v_addc_co_u32_e32 v1, vcc, v2, v16, vcc
	s_waitcnt vmcnt(0) lgkmcnt(0)
	v_mul_f64 v[15:16], s[22:23], v[5:6]
	v_mul_f64 v[5:6], s[20:21], v[5:6]
	v_fma_f64 v[15:16], s[20:21], v[3:4], -v[15:16]
	v_fma_f64 v[4:5], s[22:23], v[3:4], v[5:6]
	v_mul_f64 v[2:3], s[22:23], v[9:10]
	v_mul_f64 v[9:10], s[20:21], v[9:10]
	v_fma_f64 v[19:20], s[20:21], v[7:8], -v[2:3]
	flat_load_dwordx4 v[0:3], v[0:1]
	v_fma_f64 v[6:7], s[22:23], v[7:8], v[9:10]
	s_waitcnt vmcnt(0) lgkmcnt(0)
	v_mul_f64 v[8:9], v[2:3], v[4:5]
	v_mul_f64 v[4:5], v[0:1], v[4:5]
	v_fma_f64 v[8:9], v[0:1], v[15:16], -v[8:9]
	v_fma_f64 v[4:5], v[2:3], v[15:16], v[4:5]
	flat_load_dwordx4 v[0:3], v[17:18]
	v_mul_f64 v[15:16], v[13:14], v[6:7]
	v_mul_f64 v[6:7], v[11:12], v[6:7]
	v_fma_f64 v[10:11], v[11:12], v[19:20], -v[15:16]
	v_fma_f64 v[6:7], v[13:14], v[19:20], v[6:7]
	v_add_f64 v[8:9], v[8:9], v[10:11]
	v_add_f64 v[4:5], v[4:5], v[6:7]
	s_waitcnt vmcnt(0) lgkmcnt(0)
	v_add_f64 v[0:1], v[0:1], v[8:9]
	v_add_f64 v[2:3], v[2:3], v[4:5]
	flat_store_dwordx4 v[17:18], v[0:3]
.LBB14_6:
	s_endpgm
.LBB14_7:
	v_cmp_gt_i32_e32 vcc, s31, v0
	v_cmp_le_i32_e64 s[0:1], v2, v0
	s_and_b64 s[6:7], s[0:1], vcc
	s_and_b64 s[28:29], s[6:7], exec
	s_cbranch_execnz .LBB14_4
.LBB14_8:
	v_cmp_gt_i32_e32 vcc, s31, v2
	v_cmp_le_i32_e64 s[0:1], v0, v2
	s_and_b64 s[0:1], s[0:1], vcc
	s_andn2_b64 s[6:7], s[28:29], exec
	s_and_b64 s[0:1], s[0:1], exec
	s_or_b64 s[28:29], s[6:7], s[0:1]
	s_and_saveexec_b64 s[0:1], s[28:29]
	s_cbranch_execnz .LBB14_5
	s_branch .LBB14_6
	.section	.rodata,"a",@progbits
	.p2align	6, 0x0
	.amdhsa_kernel _ZL19rocblas_syr2_kernelILi128ELi8ELi1EPK19rocblas_complex_numIdEPKS3_PKPS1_EvbiT2_T3_lllSA_lllT4_llli
		.amdhsa_group_segment_fixed_size 0
		.amdhsa_private_segment_fixed_size 0
		.amdhsa_kernarg_size 376
		.amdhsa_user_sgpr_count 6
		.amdhsa_user_sgpr_private_segment_buffer 1
		.amdhsa_user_sgpr_dispatch_ptr 0
		.amdhsa_user_sgpr_queue_ptr 0
		.amdhsa_user_sgpr_kernarg_segment_ptr 1
		.amdhsa_user_sgpr_dispatch_id 0
		.amdhsa_user_sgpr_flat_scratch_init 0
		.amdhsa_user_sgpr_private_segment_size 0
		.amdhsa_uses_dynamic_stack 0
		.amdhsa_system_sgpr_private_segment_wavefront_offset 0
		.amdhsa_system_sgpr_workgroup_id_x 1
		.amdhsa_system_sgpr_workgroup_id_y 1
		.amdhsa_system_sgpr_workgroup_id_z 1
		.amdhsa_system_sgpr_workgroup_info 0
		.amdhsa_system_vgpr_workitem_id 1
		.amdhsa_next_free_vgpr 21
		.amdhsa_next_free_sgpr 32
		.amdhsa_reserve_vcc 1
		.amdhsa_reserve_flat_scratch 0
		.amdhsa_float_round_mode_32 0
		.amdhsa_float_round_mode_16_64 0
		.amdhsa_float_denorm_mode_32 3
		.amdhsa_float_denorm_mode_16_64 3
		.amdhsa_dx10_clamp 1
		.amdhsa_ieee_mode 1
		.amdhsa_fp16_overflow 0
		.amdhsa_exception_fp_ieee_invalid_op 0
		.amdhsa_exception_fp_denorm_src 0
		.amdhsa_exception_fp_ieee_div_zero 0
		.amdhsa_exception_fp_ieee_overflow 0
		.amdhsa_exception_fp_ieee_underflow 0
		.amdhsa_exception_fp_ieee_inexact 0
		.amdhsa_exception_int_div_zero 0
	.end_amdhsa_kernel
	.section	.text._ZL19rocblas_syr2_kernelILi128ELi8ELi1EPK19rocblas_complex_numIdEPKS3_PKPS1_EvbiT2_T3_lllSA_lllT4_llli,"axG",@progbits,_ZL19rocblas_syr2_kernelILi128ELi8ELi1EPK19rocblas_complex_numIdEPKS3_PKPS1_EvbiT2_T3_lllSA_lllT4_llli,comdat
.Lfunc_end14:
	.size	_ZL19rocblas_syr2_kernelILi128ELi8ELi1EPK19rocblas_complex_numIdEPKS3_PKPS1_EvbiT2_T3_lllSA_lllT4_llli, .Lfunc_end14-_ZL19rocblas_syr2_kernelILi128ELi8ELi1EPK19rocblas_complex_numIdEPKS3_PKPS1_EvbiT2_T3_lllSA_lllT4_llli
                                        ; -- End function
	.set _ZL19rocblas_syr2_kernelILi128ELi8ELi1EPK19rocblas_complex_numIdEPKS3_PKPS1_EvbiT2_T3_lllSA_lllT4_llli.num_vgpr, 21
	.set _ZL19rocblas_syr2_kernelILi128ELi8ELi1EPK19rocblas_complex_numIdEPKS3_PKPS1_EvbiT2_T3_lllSA_lllT4_llli.num_agpr, 0
	.set _ZL19rocblas_syr2_kernelILi128ELi8ELi1EPK19rocblas_complex_numIdEPKS3_PKPS1_EvbiT2_T3_lllSA_lllT4_llli.numbered_sgpr, 32
	.set _ZL19rocblas_syr2_kernelILi128ELi8ELi1EPK19rocblas_complex_numIdEPKS3_PKPS1_EvbiT2_T3_lllSA_lllT4_llli.num_named_barrier, 0
	.set _ZL19rocblas_syr2_kernelILi128ELi8ELi1EPK19rocblas_complex_numIdEPKS3_PKPS1_EvbiT2_T3_lllSA_lllT4_llli.private_seg_size, 0
	.set _ZL19rocblas_syr2_kernelILi128ELi8ELi1EPK19rocblas_complex_numIdEPKS3_PKPS1_EvbiT2_T3_lllSA_lllT4_llli.uses_vcc, 1
	.set _ZL19rocblas_syr2_kernelILi128ELi8ELi1EPK19rocblas_complex_numIdEPKS3_PKPS1_EvbiT2_T3_lllSA_lllT4_llli.uses_flat_scratch, 0
	.set _ZL19rocblas_syr2_kernelILi128ELi8ELi1EPK19rocblas_complex_numIdEPKS3_PKPS1_EvbiT2_T3_lllSA_lllT4_llli.has_dyn_sized_stack, 0
	.set _ZL19rocblas_syr2_kernelILi128ELi8ELi1EPK19rocblas_complex_numIdEPKS3_PKPS1_EvbiT2_T3_lllSA_lllT4_llli.has_recursion, 0
	.set _ZL19rocblas_syr2_kernelILi128ELi8ELi1EPK19rocblas_complex_numIdEPKS3_PKPS1_EvbiT2_T3_lllSA_lllT4_llli.has_indirect_call, 0
	.section	.AMDGPU.csdata,"",@progbits
; Kernel info:
; codeLenInByte = 864
; TotalNumSgprs: 36
; NumVgprs: 21
; ScratchSize: 0
; MemoryBound: 0
; FloatMode: 240
; IeeeMode: 1
; LDSByteSize: 0 bytes/workgroup (compile time only)
; SGPRBlocks: 4
; VGPRBlocks: 5
; NumSGPRsForWavesPerEU: 36
; NumVGPRsForWavesPerEU: 21
; Occupancy: 10
; WaveLimiterHint : 1
; COMPUTE_PGM_RSRC2:SCRATCH_EN: 0
; COMPUTE_PGM_RSRC2:USER_SGPR: 6
; COMPUTE_PGM_RSRC2:TRAP_HANDLER: 0
; COMPUTE_PGM_RSRC2:TGID_X_EN: 1
; COMPUTE_PGM_RSRC2:TGID_Y_EN: 1
; COMPUTE_PGM_RSRC2:TGID_Z_EN: 1
; COMPUTE_PGM_RSRC2:TIDIG_COMP_CNT: 1
	.section	.text._ZL19rocblas_syr2_kernelILi128ELi8ELi1E19rocblas_complex_numIdEPKPKS1_PKPS1_EvbiT2_T3_lllSA_lllT4_llli,"axG",@progbits,_ZL19rocblas_syr2_kernelILi128ELi8ELi1E19rocblas_complex_numIdEPKPKS1_PKPS1_EvbiT2_T3_lllSA_lllT4_llli,comdat
	.globl	_ZL19rocblas_syr2_kernelILi128ELi8ELi1E19rocblas_complex_numIdEPKPKS1_PKPS1_EvbiT2_T3_lllSA_lllT4_llli ; -- Begin function _ZL19rocblas_syr2_kernelILi128ELi8ELi1E19rocblas_complex_numIdEPKPKS1_PKPS1_EvbiT2_T3_lllSA_lllT4_llli
	.p2align	8
	.type	_ZL19rocblas_syr2_kernelILi128ELi8ELi1E19rocblas_complex_numIdEPKPKS1_PKPS1_EvbiT2_T3_lllSA_lllT4_llli,@function
_ZL19rocblas_syr2_kernelILi128ELi8ELi1E19rocblas_complex_numIdEPKPKS1_PKPS1_EvbiT2_T3_lllSA_lllT4_llli: ; @_ZL19rocblas_syr2_kernelILi128ELi8ELi1E19rocblas_complex_numIdEPKPKS1_PKPS1_EvbiT2_T3_lllSA_lllT4_llli
; %bb.0:
	s_load_dwordx2 s[0:1], s[4:5], 0x8c
	s_waitcnt lgkmcnt(0)
	s_lshr_b32 s2, s0, 16
	s_and_b32 s0, s0, 0xffff
	s_and_b32 s1, s1, 0xffff
	s_mul_i32 s0, s2, s0
	s_mul_i32 s0, s0, s1
	s_cmpk_lg_i32 s0, 0x400
	s_cbranch_scc1 .LBB15_6
; %bb.1:
	s_load_dwordx8 s[12:19], s[4:5], 0x8
	s_mov_b64 s[24:25], 0
	s_waitcnt lgkmcnt(0)
	v_cmp_neq_f64_e64 s[0:1], s[12:13], 0
	v_cmp_neq_f64_e64 s[2:3], s[14:15], 0
	s_or_b64 s[0:1], s[0:1], s[2:3]
	s_andn2_b64 vcc, exec, s[0:1]
	s_cbranch_vccnz .LBB15_6
; %bb.2:
	s_load_dwordx2 s[26:27], s[4:5], 0x0
	s_load_dwordx2 s[10:11], s[4:5], 0x28
	s_load_dwordx4 s[0:3], s[4:5], 0x58
	s_load_dwordx4 s[20:23], s[4:5], 0x38
	s_mov_b32 s9, 0
	s_waitcnt lgkmcnt(0)
	s_and_b32 s26, s26, 1
	s_lshl_b64 s[28:29], s[8:9], 3
	s_add_u32 s8, s0, s28
	s_addc_u32 s9, s1, s29
	s_add_u32 s16, s16, s28
	s_addc_u32 s17, s17, s29
	s_add_u32 s20, s20, s28
	s_addc_u32 s21, s21, s29
	s_cmp_eq_u32 s26, 0
	v_lshl_add_u32 v0, s6, 7, v0
	v_lshl_add_u32 v2, s7, 3, v1
	s_mov_b64 s[0:1], -1
	s_cbranch_scc1 .LBB15_7
; %bb.3:
	s_andn2_b64 vcc, exec, s[0:1]
	s_cbranch_vccz .LBB15_8
.LBB15_4:
	s_and_saveexec_b64 s[0:1], s[24:25]
	s_cbranch_execz .LBB15_6
.LBB15_5:
	v_ashrrev_i32_e32 v1, 31, v0
	s_load_dwordx2 s[24:25], s[4:5], 0x68
	s_load_dwordx2 s[26:27], s[8:9], 0x0
	;; [unrolled: 1-line block ×5, first 2 shown]
	v_mul_lo_u32 v5, s11, v0
	v_mul_lo_u32 v6, s10, v1
	v_mad_u64_u32 v[3:4], s[8:9], s10, v0, 0
	s_waitcnt lgkmcnt(0)
	s_lshl_b64 s[4:5], s[24:25], 4
	s_add_u32 s16, s26, s4
	s_addc_u32 s17, s27, s5
	s_lshl_b64 s[4:5], s[18:19], 4
	v_add3_u32 v4, v4, v6, v5
	s_add_u32 s18, s28, s4
	v_lshlrev_b64 v[3:4], 4, v[3:4]
	s_addc_u32 s19, s29, s5
	v_mov_b32_e32 v5, s19
	v_add_co_u32_e32 v3, vcc, s18, v3
	v_addc_co_u32_e32 v4, vcc, v5, v4, vcc
	v_mul_lo_u32 v9, s1, v0
	v_mul_lo_u32 v10, s0, v1
	v_mad_u64_u32 v[7:8], s[8:9], s0, v0, 0
	flat_load_dwordx4 v[3:6], v[3:4]
	s_lshl_b64 s[4:5], s[22:23], 4
	v_add3_u32 v8, v8, v10, v9
	s_add_u32 s6, s6, s4
	v_lshlrev_b64 v[7:8], 4, v[7:8]
	s_addc_u32 s7, s7, s5
	v_mov_b32_e32 v9, s7
	v_add_co_u32_e32 v7, vcc, s6, v7
	v_addc_co_u32_e32 v8, vcc, v9, v8, vcc
	flat_load_dwordx4 v[7:10], v[7:8]
	v_ashrrev_i32_e32 v15, 31, v2
	v_mul_lo_u32 v17, s3, v2
	v_mad_u64_u32 v[13:14], s[4:5], s2, v2, 0
	v_mul_lo_u32 v19, s2, v15
	v_mul_lo_u32 v16, s11, v2
	v_mad_u64_u32 v[11:12], s[4:5], s10, v2, 0
	v_mul_lo_u32 v18, s10, v15
	v_add3_u32 v14, v14, v19, v17
	v_lshlrev_b64 v[13:14], 4, v[13:14]
	v_mul_lo_u32 v20, s0, v15
	v_add3_u32 v12, v12, v18, v16
	v_mul_lo_u32 v18, s1, v2
	v_mad_u64_u32 v[15:16], s[0:1], s0, v2, 0
	v_lshlrev_b64 v[0:1], 4, v[0:1]
	v_mov_b32_e32 v2, s17
	v_add_co_u32_e32 v13, vcc, s16, v13
	v_addc_co_u32_e32 v2, vcc, v2, v14, vcc
	v_lshlrev_b64 v[11:12], 4, v[11:12]
	v_add_co_u32_e32 v17, vcc, v13, v0
	v_add3_u32 v16, v16, v20, v18
	v_addc_co_u32_e32 v18, vcc, v2, v1, vcc
	v_lshlrev_b64 v[15:16], 4, v[15:16]
	v_mov_b32_e32 v14, s19
	v_add_co_u32_e32 v0, vcc, s18, v11
	v_addc_co_u32_e32 v1, vcc, v14, v12, vcc
	v_mov_b32_e32 v2, s7
	flat_load_dwordx4 v[11:14], v[0:1]
	v_add_co_u32_e32 v0, vcc, s6, v15
	v_addc_co_u32_e32 v1, vcc, v2, v16, vcc
	s_waitcnt vmcnt(0) lgkmcnt(0)
	v_mul_f64 v[15:16], s[14:15], v[5:6]
	v_mul_f64 v[5:6], s[12:13], v[5:6]
	v_fma_f64 v[15:16], s[12:13], v[3:4], -v[15:16]
	v_fma_f64 v[4:5], s[14:15], v[3:4], v[5:6]
	v_mul_f64 v[2:3], s[14:15], v[9:10]
	v_mul_f64 v[9:10], s[12:13], v[9:10]
	v_fma_f64 v[19:20], s[12:13], v[7:8], -v[2:3]
	flat_load_dwordx4 v[0:3], v[0:1]
	v_fma_f64 v[6:7], s[14:15], v[7:8], v[9:10]
	s_waitcnt vmcnt(0) lgkmcnt(0)
	v_mul_f64 v[8:9], v[2:3], v[4:5]
	v_mul_f64 v[4:5], v[0:1], v[4:5]
	v_fma_f64 v[8:9], v[0:1], v[15:16], -v[8:9]
	v_fma_f64 v[4:5], v[2:3], v[15:16], v[4:5]
	flat_load_dwordx4 v[0:3], v[17:18]
	v_mul_f64 v[15:16], v[13:14], v[6:7]
	v_mul_f64 v[6:7], v[11:12], v[6:7]
	v_fma_f64 v[10:11], v[11:12], v[19:20], -v[15:16]
	v_fma_f64 v[6:7], v[13:14], v[19:20], v[6:7]
	v_add_f64 v[8:9], v[8:9], v[10:11]
	v_add_f64 v[4:5], v[4:5], v[6:7]
	s_waitcnt vmcnt(0) lgkmcnt(0)
	v_add_f64 v[0:1], v[0:1], v[8:9]
	v_add_f64 v[2:3], v[2:3], v[4:5]
	flat_store_dwordx4 v[17:18], v[0:3]
.LBB15_6:
	s_endpgm
.LBB15_7:
	v_cmp_gt_i32_e32 vcc, s27, v0
	v_cmp_le_i32_e64 s[0:1], v2, v0
	s_and_b64 s[6:7], s[0:1], vcc
	s_and_b64 s[24:25], s[6:7], exec
	s_cbranch_execnz .LBB15_4
.LBB15_8:
	v_cmp_gt_i32_e32 vcc, s27, v2
	v_cmp_le_i32_e64 s[0:1], v0, v2
	s_and_b64 s[0:1], s[0:1], vcc
	s_andn2_b64 s[6:7], s[24:25], exec
	s_and_b64 s[0:1], s[0:1], exec
	s_or_b64 s[24:25], s[6:7], s[0:1]
	s_and_saveexec_b64 s[0:1], s[24:25]
	s_cbranch_execnz .LBB15_5
	s_branch .LBB15_6
	.section	.rodata,"a",@progbits
	.p2align	6, 0x0
	.amdhsa_kernel _ZL19rocblas_syr2_kernelILi128ELi8ELi1E19rocblas_complex_numIdEPKPKS1_PKPS1_EvbiT2_T3_lllSA_lllT4_llli
		.amdhsa_group_segment_fixed_size 0
		.amdhsa_private_segment_fixed_size 0
		.amdhsa_kernarg_size 384
		.amdhsa_user_sgpr_count 6
		.amdhsa_user_sgpr_private_segment_buffer 1
		.amdhsa_user_sgpr_dispatch_ptr 0
		.amdhsa_user_sgpr_queue_ptr 0
		.amdhsa_user_sgpr_kernarg_segment_ptr 1
		.amdhsa_user_sgpr_dispatch_id 0
		.amdhsa_user_sgpr_flat_scratch_init 0
		.amdhsa_user_sgpr_private_segment_size 0
		.amdhsa_uses_dynamic_stack 0
		.amdhsa_system_sgpr_private_segment_wavefront_offset 0
		.amdhsa_system_sgpr_workgroup_id_x 1
		.amdhsa_system_sgpr_workgroup_id_y 1
		.amdhsa_system_sgpr_workgroup_id_z 1
		.amdhsa_system_sgpr_workgroup_info 0
		.amdhsa_system_vgpr_workitem_id 1
		.amdhsa_next_free_vgpr 21
		.amdhsa_next_free_sgpr 30
		.amdhsa_reserve_vcc 1
		.amdhsa_reserve_flat_scratch 0
		.amdhsa_float_round_mode_32 0
		.amdhsa_float_round_mode_16_64 0
		.amdhsa_float_denorm_mode_32 3
		.amdhsa_float_denorm_mode_16_64 3
		.amdhsa_dx10_clamp 1
		.amdhsa_ieee_mode 1
		.amdhsa_fp16_overflow 0
		.amdhsa_exception_fp_ieee_invalid_op 0
		.amdhsa_exception_fp_denorm_src 0
		.amdhsa_exception_fp_ieee_div_zero 0
		.amdhsa_exception_fp_ieee_overflow 0
		.amdhsa_exception_fp_ieee_underflow 0
		.amdhsa_exception_fp_ieee_inexact 0
		.amdhsa_exception_int_div_zero 0
	.end_amdhsa_kernel
	.section	.text._ZL19rocblas_syr2_kernelILi128ELi8ELi1E19rocblas_complex_numIdEPKPKS1_PKPS1_EvbiT2_T3_lllSA_lllT4_llli,"axG",@progbits,_ZL19rocblas_syr2_kernelILi128ELi8ELi1E19rocblas_complex_numIdEPKPKS1_PKPS1_EvbiT2_T3_lllSA_lllT4_llli,comdat
.Lfunc_end15:
	.size	_ZL19rocblas_syr2_kernelILi128ELi8ELi1E19rocblas_complex_numIdEPKPKS1_PKPS1_EvbiT2_T3_lllSA_lllT4_llli, .Lfunc_end15-_ZL19rocblas_syr2_kernelILi128ELi8ELi1E19rocblas_complex_numIdEPKPKS1_PKPS1_EvbiT2_T3_lllSA_lllT4_llli
                                        ; -- End function
	.set _ZL19rocblas_syr2_kernelILi128ELi8ELi1E19rocblas_complex_numIdEPKPKS1_PKPS1_EvbiT2_T3_lllSA_lllT4_llli.num_vgpr, 21
	.set _ZL19rocblas_syr2_kernelILi128ELi8ELi1E19rocblas_complex_numIdEPKPKS1_PKPS1_EvbiT2_T3_lllSA_lllT4_llli.num_agpr, 0
	.set _ZL19rocblas_syr2_kernelILi128ELi8ELi1E19rocblas_complex_numIdEPKPKS1_PKPS1_EvbiT2_T3_lllSA_lllT4_llli.numbered_sgpr, 30
	.set _ZL19rocblas_syr2_kernelILi128ELi8ELi1E19rocblas_complex_numIdEPKPKS1_PKPS1_EvbiT2_T3_lllSA_lllT4_llli.num_named_barrier, 0
	.set _ZL19rocblas_syr2_kernelILi128ELi8ELi1E19rocblas_complex_numIdEPKPKS1_PKPS1_EvbiT2_T3_lllSA_lllT4_llli.private_seg_size, 0
	.set _ZL19rocblas_syr2_kernelILi128ELi8ELi1E19rocblas_complex_numIdEPKPKS1_PKPS1_EvbiT2_T3_lllSA_lllT4_llli.uses_vcc, 1
	.set _ZL19rocblas_syr2_kernelILi128ELi8ELi1E19rocblas_complex_numIdEPKPKS1_PKPS1_EvbiT2_T3_lllSA_lllT4_llli.uses_flat_scratch, 0
	.set _ZL19rocblas_syr2_kernelILi128ELi8ELi1E19rocblas_complex_numIdEPKPKS1_PKPS1_EvbiT2_T3_lllSA_lllT4_llli.has_dyn_sized_stack, 0
	.set _ZL19rocblas_syr2_kernelILi128ELi8ELi1E19rocblas_complex_numIdEPKPKS1_PKPS1_EvbiT2_T3_lllSA_lllT4_llli.has_recursion, 0
	.set _ZL19rocblas_syr2_kernelILi128ELi8ELi1E19rocblas_complex_numIdEPKPKS1_PKPS1_EvbiT2_T3_lllSA_lllT4_llli.has_indirect_call, 0
	.section	.AMDGPU.csdata,"",@progbits
; Kernel info:
; codeLenInByte = 860
; TotalNumSgprs: 34
; NumVgprs: 21
; ScratchSize: 0
; MemoryBound: 0
; FloatMode: 240
; IeeeMode: 1
; LDSByteSize: 0 bytes/workgroup (compile time only)
; SGPRBlocks: 4
; VGPRBlocks: 5
; NumSGPRsForWavesPerEU: 34
; NumVGPRsForWavesPerEU: 21
; Occupancy: 10
; WaveLimiterHint : 1
; COMPUTE_PGM_RSRC2:SCRATCH_EN: 0
; COMPUTE_PGM_RSRC2:USER_SGPR: 6
; COMPUTE_PGM_RSRC2:TRAP_HANDLER: 0
; COMPUTE_PGM_RSRC2:TGID_X_EN: 1
; COMPUTE_PGM_RSRC2:TGID_Y_EN: 1
; COMPUTE_PGM_RSRC2:TGID_Z_EN: 1
; COMPUTE_PGM_RSRC2:TIDIG_COMP_CNT: 1
	.section	.AMDGPU.gpr_maximums,"",@progbits
	.set amdgpu.max_num_vgpr, 0
	.set amdgpu.max_num_agpr, 0
	.set amdgpu.max_num_sgpr, 0
	.section	.AMDGPU.csdata,"",@progbits
	.type	__hip_cuid_a018b7b61a7fb1f6,@object ; @__hip_cuid_a018b7b61a7fb1f6
	.section	.bss,"aw",@nobits
	.globl	__hip_cuid_a018b7b61a7fb1f6
__hip_cuid_a018b7b61a7fb1f6:
	.byte	0                               ; 0x0
	.size	__hip_cuid_a018b7b61a7fb1f6, 1

	.ident	"AMD clang version 22.0.0git (https://github.com/RadeonOpenCompute/llvm-project roc-7.2.4 26084 f58b06dce1f9c15707c5f808fd002e18c2accf7e)"
	.section	".note.GNU-stack","",@progbits
	.addrsig
	.addrsig_sym __hip_cuid_a018b7b61a7fb1f6
	.amdgpu_metadata
---
amdhsa.kernels:
  - .args:
      - .offset:         0
        .size:           1
        .value_kind:     by_value
      - .offset:         4
        .size:           4
        .value_kind:     by_value
      - .address_space:  global
        .offset:         8
        .size:           8
        .value_kind:     global_buffer
      - .address_space:  global
        .offset:         16
        .size:           8
        .value_kind:     global_buffer
      - .offset:         24
        .size:           8
        .value_kind:     by_value
      - .offset:         32
        .size:           8
        .value_kind:     by_value
      - .offset:         40
        .size:           8
        .value_kind:     by_value
      - .address_space:  global
        .offset:         48
        .size:           8
        .value_kind:     global_buffer
      - .offset:         56
        .size:           8
        .value_kind:     by_value
      - .offset:         64
        .size:           8
        .value_kind:     by_value
      - .offset:         72
        .size:           8
        .value_kind:     by_value
      - .address_space:  global
        .offset:         80
        .size:           8
        .value_kind:     global_buffer
      - .offset:         88
        .size:           8
        .value_kind:     by_value
      - .offset:         96
        .size:           8
        .value_kind:     by_value
      - .offset:         104
        .size:           8
        .value_kind:     by_value
      - .offset:         112
        .size:           4
        .value_kind:     by_value
      - .offset:         120
        .size:           4
        .value_kind:     hidden_block_count_x
      - .offset:         124
        .size:           4
        .value_kind:     hidden_block_count_y
      - .offset:         128
        .size:           4
        .value_kind:     hidden_block_count_z
      - .offset:         132
        .size:           2
        .value_kind:     hidden_group_size_x
      - .offset:         134
        .size:           2
        .value_kind:     hidden_group_size_y
      - .offset:         136
        .size:           2
        .value_kind:     hidden_group_size_z
      - .offset:         138
        .size:           2
        .value_kind:     hidden_remainder_x
      - .offset:         140
        .size:           2
        .value_kind:     hidden_remainder_y
      - .offset:         142
        .size:           2
        .value_kind:     hidden_remainder_z
      - .offset:         160
        .size:           8
        .value_kind:     hidden_global_offset_x
      - .offset:         168
        .size:           8
        .value_kind:     hidden_global_offset_y
      - .offset:         176
        .size:           8
        .value_kind:     hidden_global_offset_z
      - .offset:         184
        .size:           2
        .value_kind:     hidden_grid_dims
    .group_segment_fixed_size: 0
    .kernarg_segment_align: 8
    .kernarg_segment_size: 376
    .language:       OpenCL C
    .language_version:
      - 2
      - 0
    .max_flat_workgroup_size: 1024
    .name:           _ZL19rocblas_syr2_kernelILi128ELi8ELi2EPKfS1_PfEvbiT2_T3_lllS4_lllT4_llli
    .private_segment_fixed_size: 0
    .sgpr_count:     48
    .sgpr_spill_count: 0
    .symbol:         _ZL19rocblas_syr2_kernelILi128ELi8ELi2EPKfS1_PfEvbiT2_T3_lllS4_lllT4_llli.kd
    .uniform_work_group_size: 1
    .uses_dynamic_stack: false
    .vgpr_count:     17
    .vgpr_spill_count: 0
    .wavefront_size: 64
  - .args:
      - .offset:         0
        .size:           1
        .value_kind:     by_value
      - .offset:         4
        .size:           4
        .value_kind:     by_value
      - .offset:         8
        .size:           4
        .value_kind:     by_value
      - .address_space:  global
        .offset:         16
        .size:           8
        .value_kind:     global_buffer
      - .offset:         24
        .size:           8
        .value_kind:     by_value
      - .offset:         32
        .size:           8
        .value_kind:     by_value
      - .offset:         40
        .size:           8
        .value_kind:     by_value
      - .address_space:  global
        .offset:         48
        .size:           8
        .value_kind:     global_buffer
      - .offset:         56
        .size:           8
        .value_kind:     by_value
      - .offset:         64
        .size:           8
        .value_kind:     by_value
      - .offset:         72
        .size:           8
        .value_kind:     by_value
      - .address_space:  global
        .offset:         80
        .size:           8
        .value_kind:     global_buffer
      - .offset:         88
        .size:           8
        .value_kind:     by_value
      - .offset:         96
        .size:           8
        .value_kind:     by_value
      - .offset:         104
        .size:           8
        .value_kind:     by_value
      - .offset:         112
        .size:           4
        .value_kind:     by_value
      - .offset:         120
        .size:           4
        .value_kind:     hidden_block_count_x
      - .offset:         124
        .size:           4
        .value_kind:     hidden_block_count_y
      - .offset:         128
        .size:           4
        .value_kind:     hidden_block_count_z
      - .offset:         132
        .size:           2
        .value_kind:     hidden_group_size_x
      - .offset:         134
        .size:           2
        .value_kind:     hidden_group_size_y
      - .offset:         136
        .size:           2
        .value_kind:     hidden_group_size_z
      - .offset:         138
        .size:           2
        .value_kind:     hidden_remainder_x
      - .offset:         140
        .size:           2
        .value_kind:     hidden_remainder_y
      - .offset:         142
        .size:           2
        .value_kind:     hidden_remainder_z
      - .offset:         160
        .size:           8
        .value_kind:     hidden_global_offset_x
      - .offset:         168
        .size:           8
        .value_kind:     hidden_global_offset_y
      - .offset:         176
        .size:           8
        .value_kind:     hidden_global_offset_z
      - .offset:         184
        .size:           2
        .value_kind:     hidden_grid_dims
    .group_segment_fixed_size: 0
    .kernarg_segment_align: 8
    .kernarg_segment_size: 376
    .language:       OpenCL C
    .language_version:
      - 2
      - 0
    .max_flat_workgroup_size: 1024
    .name:           _ZL19rocblas_syr2_kernelILi128ELi8ELi2EfPKfPfEvbiT2_T3_lllS4_lllT4_llli
    .private_segment_fixed_size: 0
    .sgpr_count:     48
    .sgpr_spill_count: 0
    .symbol:         _ZL19rocblas_syr2_kernelILi128ELi8ELi2EfPKfPfEvbiT2_T3_lllS4_lllT4_llli.kd
    .uniform_work_group_size: 1
    .uses_dynamic_stack: false
    .vgpr_count:     17
    .vgpr_spill_count: 0
    .wavefront_size: 64
  - .args:
      - .offset:         0
        .size:           1
        .value_kind:     by_value
      - .offset:         4
        .size:           4
        .value_kind:     by_value
      - .address_space:  global
        .offset:         8
        .size:           8
        .value_kind:     global_buffer
      - .address_space:  global
        .offset:         16
        .size:           8
        .value_kind:     global_buffer
      - .offset:         24
        .size:           8
        .value_kind:     by_value
      - .offset:         32
        .size:           8
        .value_kind:     by_value
      - .offset:         40
        .size:           8
        .value_kind:     by_value
      - .address_space:  global
        .offset:         48
        .size:           8
        .value_kind:     global_buffer
      - .offset:         56
        .size:           8
        .value_kind:     by_value
      - .offset:         64
        .size:           8
        .value_kind:     by_value
      - .offset:         72
        .size:           8
        .value_kind:     by_value
      - .address_space:  global
        .offset:         80
        .size:           8
        .value_kind:     global_buffer
      - .offset:         88
        .size:           8
        .value_kind:     by_value
      - .offset:         96
        .size:           8
        .value_kind:     by_value
      - .offset:         104
        .size:           8
        .value_kind:     by_value
      - .offset:         112
        .size:           4
        .value_kind:     by_value
      - .offset:         120
        .size:           4
        .value_kind:     hidden_block_count_x
      - .offset:         124
        .size:           4
        .value_kind:     hidden_block_count_y
      - .offset:         128
        .size:           4
        .value_kind:     hidden_block_count_z
      - .offset:         132
        .size:           2
        .value_kind:     hidden_group_size_x
      - .offset:         134
        .size:           2
        .value_kind:     hidden_group_size_y
      - .offset:         136
        .size:           2
        .value_kind:     hidden_group_size_z
      - .offset:         138
        .size:           2
        .value_kind:     hidden_remainder_x
      - .offset:         140
        .size:           2
        .value_kind:     hidden_remainder_y
      - .offset:         142
        .size:           2
        .value_kind:     hidden_remainder_z
      - .offset:         160
        .size:           8
        .value_kind:     hidden_global_offset_x
      - .offset:         168
        .size:           8
        .value_kind:     hidden_global_offset_y
      - .offset:         176
        .size:           8
        .value_kind:     hidden_global_offset_z
      - .offset:         184
        .size:           2
        .value_kind:     hidden_grid_dims
    .group_segment_fixed_size: 0
    .kernarg_segment_align: 8
    .kernarg_segment_size: 376
    .language:       OpenCL C
    .language_version:
      - 2
      - 0
    .max_flat_workgroup_size: 1024
    .name:           _ZL19rocblas_syr2_kernelILi128ELi8ELi1EPKdS1_PdEvbiT2_T3_lllS4_lllT4_llli
    .private_segment_fixed_size: 0
    .sgpr_count:     48
    .sgpr_spill_count: 0
    .symbol:         _ZL19rocblas_syr2_kernelILi128ELi8ELi1EPKdS1_PdEvbiT2_T3_lllS4_lllT4_llli.kd
    .uniform_work_group_size: 1
    .uses_dynamic_stack: false
    .vgpr_count:     19
    .vgpr_spill_count: 0
    .wavefront_size: 64
  - .args:
      - .offset:         0
        .size:           1
        .value_kind:     by_value
      - .offset:         4
        .size:           4
        .value_kind:     by_value
      - .offset:         8
        .size:           8
        .value_kind:     by_value
      - .address_space:  global
        .offset:         16
        .size:           8
        .value_kind:     global_buffer
      - .offset:         24
        .size:           8
        .value_kind:     by_value
      - .offset:         32
        .size:           8
        .value_kind:     by_value
      - .offset:         40
        .size:           8
        .value_kind:     by_value
      - .address_space:  global
        .offset:         48
        .size:           8
        .value_kind:     global_buffer
      - .offset:         56
        .size:           8
        .value_kind:     by_value
      - .offset:         64
        .size:           8
        .value_kind:     by_value
      - .offset:         72
        .size:           8
        .value_kind:     by_value
      - .address_space:  global
        .offset:         80
        .size:           8
        .value_kind:     global_buffer
      - .offset:         88
        .size:           8
        .value_kind:     by_value
      - .offset:         96
        .size:           8
        .value_kind:     by_value
      - .offset:         104
        .size:           8
        .value_kind:     by_value
      - .offset:         112
        .size:           4
        .value_kind:     by_value
      - .offset:         120
        .size:           4
        .value_kind:     hidden_block_count_x
      - .offset:         124
        .size:           4
        .value_kind:     hidden_block_count_y
      - .offset:         128
        .size:           4
        .value_kind:     hidden_block_count_z
      - .offset:         132
        .size:           2
        .value_kind:     hidden_group_size_x
      - .offset:         134
        .size:           2
        .value_kind:     hidden_group_size_y
      - .offset:         136
        .size:           2
        .value_kind:     hidden_group_size_z
      - .offset:         138
        .size:           2
        .value_kind:     hidden_remainder_x
      - .offset:         140
        .size:           2
        .value_kind:     hidden_remainder_y
      - .offset:         142
        .size:           2
        .value_kind:     hidden_remainder_z
      - .offset:         160
        .size:           8
        .value_kind:     hidden_global_offset_x
      - .offset:         168
        .size:           8
        .value_kind:     hidden_global_offset_y
      - .offset:         176
        .size:           8
        .value_kind:     hidden_global_offset_z
      - .offset:         184
        .size:           2
        .value_kind:     hidden_grid_dims
    .group_segment_fixed_size: 0
    .kernarg_segment_align: 8
    .kernarg_segment_size: 376
    .language:       OpenCL C
    .language_version:
      - 2
      - 0
    .max_flat_workgroup_size: 1024
    .name:           _ZL19rocblas_syr2_kernelILi128ELi8ELi1EdPKdPdEvbiT2_T3_lllS4_lllT4_llli
    .private_segment_fixed_size: 0
    .sgpr_count:     48
    .sgpr_spill_count: 0
    .symbol:         _ZL19rocblas_syr2_kernelILi128ELi8ELi1EdPKdPdEvbiT2_T3_lllS4_lllT4_llli.kd
    .uniform_work_group_size: 1
    .uses_dynamic_stack: false
    .vgpr_count:     19
    .vgpr_spill_count: 0
    .wavefront_size: 64
  - .args:
      - .offset:         0
        .size:           1
        .value_kind:     by_value
      - .offset:         4
        .size:           4
        .value_kind:     by_value
      - .address_space:  global
        .offset:         8
        .size:           8
        .value_kind:     global_buffer
      - .address_space:  global
        .offset:         16
        .size:           8
        .value_kind:     global_buffer
      - .offset:         24
        .size:           8
        .value_kind:     by_value
      - .offset:         32
        .size:           8
        .value_kind:     by_value
      - .offset:         40
        .size:           8
        .value_kind:     by_value
      - .address_space:  global
        .offset:         48
        .size:           8
        .value_kind:     global_buffer
      - .offset:         56
        .size:           8
        .value_kind:     by_value
      - .offset:         64
        .size:           8
        .value_kind:     by_value
      - .offset:         72
        .size:           8
        .value_kind:     by_value
      - .address_space:  global
        .offset:         80
        .size:           8
        .value_kind:     global_buffer
      - .offset:         88
        .size:           8
        .value_kind:     by_value
      - .offset:         96
        .size:           8
        .value_kind:     by_value
      - .offset:         104
        .size:           8
        .value_kind:     by_value
      - .offset:         112
        .size:           4
        .value_kind:     by_value
      - .offset:         120
        .size:           4
        .value_kind:     hidden_block_count_x
      - .offset:         124
        .size:           4
        .value_kind:     hidden_block_count_y
      - .offset:         128
        .size:           4
        .value_kind:     hidden_block_count_z
      - .offset:         132
        .size:           2
        .value_kind:     hidden_group_size_x
      - .offset:         134
        .size:           2
        .value_kind:     hidden_group_size_y
      - .offset:         136
        .size:           2
        .value_kind:     hidden_group_size_z
      - .offset:         138
        .size:           2
        .value_kind:     hidden_remainder_x
      - .offset:         140
        .size:           2
        .value_kind:     hidden_remainder_y
      - .offset:         142
        .size:           2
        .value_kind:     hidden_remainder_z
      - .offset:         160
        .size:           8
        .value_kind:     hidden_global_offset_x
      - .offset:         168
        .size:           8
        .value_kind:     hidden_global_offset_y
      - .offset:         176
        .size:           8
        .value_kind:     hidden_global_offset_z
      - .offset:         184
        .size:           2
        .value_kind:     hidden_grid_dims
    .group_segment_fixed_size: 0
    .kernarg_segment_align: 8
    .kernarg_segment_size: 376
    .language:       OpenCL C
    .language_version:
      - 2
      - 0
    .max_flat_workgroup_size: 1024
    .name:           _ZL19rocblas_syr2_kernelILi128ELi8ELi1EPK19rocblas_complex_numIfES3_PS1_EvbiT2_T3_lllS6_lllT4_llli
    .private_segment_fixed_size: 0
    .sgpr_count:     48
    .sgpr_spill_count: 0
    .symbol:         _ZL19rocblas_syr2_kernelILi128ELi8ELi1EPK19rocblas_complex_numIfES3_PS1_EvbiT2_T3_lllS6_lllT4_llli.kd
    .uniform_work_group_size: 1
    .uses_dynamic_stack: false
    .vgpr_count:     19
    .vgpr_spill_count: 0
    .wavefront_size: 64
  - .args:
      - .offset:         0
        .size:           1
        .value_kind:     by_value
      - .offset:         4
        .size:           4
        .value_kind:     by_value
      - .offset:         8
        .size:           8
        .value_kind:     by_value
      - .address_space:  global
        .offset:         16
        .size:           8
        .value_kind:     global_buffer
      - .offset:         24
        .size:           8
        .value_kind:     by_value
      - .offset:         32
        .size:           8
        .value_kind:     by_value
      - .offset:         40
        .size:           8
        .value_kind:     by_value
      - .address_space:  global
        .offset:         48
        .size:           8
        .value_kind:     global_buffer
      - .offset:         56
        .size:           8
        .value_kind:     by_value
      - .offset:         64
        .size:           8
        .value_kind:     by_value
      - .offset:         72
        .size:           8
        .value_kind:     by_value
      - .address_space:  global
        .offset:         80
        .size:           8
        .value_kind:     global_buffer
      - .offset:         88
        .size:           8
        .value_kind:     by_value
      - .offset:         96
        .size:           8
        .value_kind:     by_value
      - .offset:         104
        .size:           8
        .value_kind:     by_value
      - .offset:         112
        .size:           4
        .value_kind:     by_value
      - .offset:         120
        .size:           4
        .value_kind:     hidden_block_count_x
      - .offset:         124
        .size:           4
        .value_kind:     hidden_block_count_y
      - .offset:         128
        .size:           4
        .value_kind:     hidden_block_count_z
      - .offset:         132
        .size:           2
        .value_kind:     hidden_group_size_x
      - .offset:         134
        .size:           2
        .value_kind:     hidden_group_size_y
      - .offset:         136
        .size:           2
        .value_kind:     hidden_group_size_z
      - .offset:         138
        .size:           2
        .value_kind:     hidden_remainder_x
      - .offset:         140
        .size:           2
        .value_kind:     hidden_remainder_y
      - .offset:         142
        .size:           2
        .value_kind:     hidden_remainder_z
      - .offset:         160
        .size:           8
        .value_kind:     hidden_global_offset_x
      - .offset:         168
        .size:           8
        .value_kind:     hidden_global_offset_y
      - .offset:         176
        .size:           8
        .value_kind:     hidden_global_offset_z
      - .offset:         184
        .size:           2
        .value_kind:     hidden_grid_dims
    .group_segment_fixed_size: 0
    .kernarg_segment_align: 8
    .kernarg_segment_size: 376
    .language:       OpenCL C
    .language_version:
      - 2
      - 0
    .max_flat_workgroup_size: 1024
    .name:           _ZL19rocblas_syr2_kernelILi128ELi8ELi1E19rocblas_complex_numIfEPKS1_PS1_EvbiT2_T3_lllS6_lllT4_llli
    .private_segment_fixed_size: 0
    .sgpr_count:     48
    .sgpr_spill_count: 0
    .symbol:         _ZL19rocblas_syr2_kernelILi128ELi8ELi1E19rocblas_complex_numIfEPKS1_PS1_EvbiT2_T3_lllS6_lllT4_llli.kd
    .uniform_work_group_size: 1
    .uses_dynamic_stack: false
    .vgpr_count:     19
    .vgpr_spill_count: 0
    .wavefront_size: 64
  - .args:
      - .offset:         0
        .size:           1
        .value_kind:     by_value
      - .offset:         4
        .size:           4
        .value_kind:     by_value
      - .address_space:  global
        .offset:         8
        .size:           8
        .value_kind:     global_buffer
      - .address_space:  global
        .offset:         16
        .size:           8
        .value_kind:     global_buffer
      - .offset:         24
        .size:           8
        .value_kind:     by_value
      - .offset:         32
        .size:           8
        .value_kind:     by_value
      - .offset:         40
        .size:           8
        .value_kind:     by_value
      - .address_space:  global
        .offset:         48
        .size:           8
        .value_kind:     global_buffer
      - .offset:         56
        .size:           8
        .value_kind:     by_value
      - .offset:         64
        .size:           8
        .value_kind:     by_value
      - .offset:         72
        .size:           8
        .value_kind:     by_value
      - .address_space:  global
        .offset:         80
        .size:           8
        .value_kind:     global_buffer
      - .offset:         88
        .size:           8
        .value_kind:     by_value
      - .offset:         96
        .size:           8
        .value_kind:     by_value
      - .offset:         104
        .size:           8
        .value_kind:     by_value
      - .offset:         112
        .size:           4
        .value_kind:     by_value
      - .offset:         120
        .size:           4
        .value_kind:     hidden_block_count_x
      - .offset:         124
        .size:           4
        .value_kind:     hidden_block_count_y
      - .offset:         128
        .size:           4
        .value_kind:     hidden_block_count_z
      - .offset:         132
        .size:           2
        .value_kind:     hidden_group_size_x
      - .offset:         134
        .size:           2
        .value_kind:     hidden_group_size_y
      - .offset:         136
        .size:           2
        .value_kind:     hidden_group_size_z
      - .offset:         138
        .size:           2
        .value_kind:     hidden_remainder_x
      - .offset:         140
        .size:           2
        .value_kind:     hidden_remainder_y
      - .offset:         142
        .size:           2
        .value_kind:     hidden_remainder_z
      - .offset:         160
        .size:           8
        .value_kind:     hidden_global_offset_x
      - .offset:         168
        .size:           8
        .value_kind:     hidden_global_offset_y
      - .offset:         176
        .size:           8
        .value_kind:     hidden_global_offset_z
      - .offset:         184
        .size:           2
        .value_kind:     hidden_grid_dims
    .group_segment_fixed_size: 0
    .kernarg_segment_align: 8
    .kernarg_segment_size: 376
    .language:       OpenCL C
    .language_version:
      - 2
      - 0
    .max_flat_workgroup_size: 1024
    .name:           _ZL19rocblas_syr2_kernelILi128ELi8ELi1EPK19rocblas_complex_numIdES3_PS1_EvbiT2_T3_lllS6_lllT4_llli
    .private_segment_fixed_size: 0
    .sgpr_count:     48
    .sgpr_spill_count: 0
    .symbol:         _ZL19rocblas_syr2_kernelILi128ELi8ELi1EPK19rocblas_complex_numIdES3_PS1_EvbiT2_T3_lllS6_lllT4_llli.kd
    .uniform_work_group_size: 1
    .uses_dynamic_stack: false
    .vgpr_count:     22
    .vgpr_spill_count: 0
    .wavefront_size: 64
  - .args:
      - .offset:         0
        .size:           1
        .value_kind:     by_value
      - .offset:         4
        .size:           4
        .value_kind:     by_value
      - .offset:         8
        .size:           16
        .value_kind:     by_value
      - .address_space:  global
        .offset:         24
        .size:           8
        .value_kind:     global_buffer
      - .offset:         32
        .size:           8
        .value_kind:     by_value
      - .offset:         40
        .size:           8
        .value_kind:     by_value
      - .offset:         48
        .size:           8
        .value_kind:     by_value
      - .address_space:  global
        .offset:         56
        .size:           8
        .value_kind:     global_buffer
      - .offset:         64
        .size:           8
        .value_kind:     by_value
      - .offset:         72
        .size:           8
        .value_kind:     by_value
      - .offset:         80
        .size:           8
        .value_kind:     by_value
      - .address_space:  global
        .offset:         88
        .size:           8
        .value_kind:     global_buffer
      - .offset:         96
        .size:           8
        .value_kind:     by_value
      - .offset:         104
        .size:           8
        .value_kind:     by_value
      - .offset:         112
        .size:           8
        .value_kind:     by_value
      - .offset:         120
        .size:           4
        .value_kind:     by_value
      - .offset:         128
        .size:           4
        .value_kind:     hidden_block_count_x
      - .offset:         132
        .size:           4
        .value_kind:     hidden_block_count_y
      - .offset:         136
        .size:           4
        .value_kind:     hidden_block_count_z
      - .offset:         140
        .size:           2
        .value_kind:     hidden_group_size_x
      - .offset:         142
        .size:           2
        .value_kind:     hidden_group_size_y
      - .offset:         144
        .size:           2
        .value_kind:     hidden_group_size_z
      - .offset:         146
        .size:           2
        .value_kind:     hidden_remainder_x
      - .offset:         148
        .size:           2
        .value_kind:     hidden_remainder_y
      - .offset:         150
        .size:           2
        .value_kind:     hidden_remainder_z
      - .offset:         168
        .size:           8
        .value_kind:     hidden_global_offset_x
      - .offset:         176
        .size:           8
        .value_kind:     hidden_global_offset_y
      - .offset:         184
        .size:           8
        .value_kind:     hidden_global_offset_z
      - .offset:         192
        .size:           2
        .value_kind:     hidden_grid_dims
    .group_segment_fixed_size: 0
    .kernarg_segment_align: 8
    .kernarg_segment_size: 384
    .language:       OpenCL C
    .language_version:
      - 2
      - 0
    .max_flat_workgroup_size: 1024
    .name:           _ZL19rocblas_syr2_kernelILi128ELi8ELi1E19rocblas_complex_numIdEPKS1_PS1_EvbiT2_T3_lllS6_lllT4_llli
    .private_segment_fixed_size: 0
    .sgpr_count:     48
    .sgpr_spill_count: 0
    .symbol:         _ZL19rocblas_syr2_kernelILi128ELi8ELi1E19rocblas_complex_numIdEPKS1_PS1_EvbiT2_T3_lllS6_lllT4_llli.kd
    .uniform_work_group_size: 1
    .uses_dynamic_stack: false
    .vgpr_count:     21
    .vgpr_spill_count: 0
    .wavefront_size: 64
  - .args:
      - .offset:         0
        .size:           1
        .value_kind:     by_value
      - .offset:         4
        .size:           4
        .value_kind:     by_value
      - .address_space:  global
        .offset:         8
        .size:           8
        .value_kind:     global_buffer
      - .address_space:  global
        .offset:         16
        .size:           8
        .value_kind:     global_buffer
      - .offset:         24
        .size:           8
        .value_kind:     by_value
      - .offset:         32
        .size:           8
        .value_kind:     by_value
      - .offset:         40
        .size:           8
        .value_kind:     by_value
      - .address_space:  global
        .offset:         48
        .size:           8
        .value_kind:     global_buffer
      - .offset:         56
        .size:           8
        .value_kind:     by_value
      - .offset:         64
        .size:           8
        .value_kind:     by_value
      - .offset:         72
        .size:           8
        .value_kind:     by_value
      - .address_space:  global
        .offset:         80
        .size:           8
        .value_kind:     global_buffer
      - .offset:         88
        .size:           8
        .value_kind:     by_value
      - .offset:         96
        .size:           8
        .value_kind:     by_value
      - .offset:         104
        .size:           8
        .value_kind:     by_value
      - .offset:         112
        .size:           4
        .value_kind:     by_value
      - .offset:         120
        .size:           4
        .value_kind:     hidden_block_count_x
      - .offset:         124
        .size:           4
        .value_kind:     hidden_block_count_y
      - .offset:         128
        .size:           4
        .value_kind:     hidden_block_count_z
      - .offset:         132
        .size:           2
        .value_kind:     hidden_group_size_x
      - .offset:         134
        .size:           2
        .value_kind:     hidden_group_size_y
      - .offset:         136
        .size:           2
        .value_kind:     hidden_group_size_z
      - .offset:         138
        .size:           2
        .value_kind:     hidden_remainder_x
      - .offset:         140
        .size:           2
        .value_kind:     hidden_remainder_y
      - .offset:         142
        .size:           2
        .value_kind:     hidden_remainder_z
      - .offset:         160
        .size:           8
        .value_kind:     hidden_global_offset_x
      - .offset:         168
        .size:           8
        .value_kind:     hidden_global_offset_y
      - .offset:         176
        .size:           8
        .value_kind:     hidden_global_offset_z
      - .offset:         184
        .size:           2
        .value_kind:     hidden_grid_dims
    .group_segment_fixed_size: 0
    .kernarg_segment_align: 8
    .kernarg_segment_size: 376
    .language:       OpenCL C
    .language_version:
      - 2
      - 0
    .max_flat_workgroup_size: 1024
    .name:           _ZL19rocblas_syr2_kernelILi128ELi8ELi2EPKfPKS1_PKPfEvbiT2_T3_lllS8_lllT4_llli
    .private_segment_fixed_size: 0
    .sgpr_count:     36
    .sgpr_spill_count: 0
    .symbol:         _ZL19rocblas_syr2_kernelILi128ELi8ELi2EPKfPKS1_PKPfEvbiT2_T3_lllS8_lllT4_llli.kd
    .uniform_work_group_size: 1
    .uses_dynamic_stack: false
    .vgpr_count:     17
    .vgpr_spill_count: 0
    .wavefront_size: 64
  - .args:
      - .offset:         0
        .size:           1
        .value_kind:     by_value
      - .offset:         4
        .size:           4
        .value_kind:     by_value
      - .offset:         8
        .size:           4
        .value_kind:     by_value
      - .address_space:  global
        .offset:         16
        .size:           8
        .value_kind:     global_buffer
      - .offset:         24
        .size:           8
        .value_kind:     by_value
      - .offset:         32
        .size:           8
        .value_kind:     by_value
      - .offset:         40
        .size:           8
        .value_kind:     by_value
      - .address_space:  global
        .offset:         48
        .size:           8
        .value_kind:     global_buffer
      - .offset:         56
        .size:           8
        .value_kind:     by_value
      - .offset:         64
        .size:           8
        .value_kind:     by_value
      - .offset:         72
        .size:           8
        .value_kind:     by_value
      - .address_space:  global
        .offset:         80
        .size:           8
        .value_kind:     global_buffer
      - .offset:         88
        .size:           8
        .value_kind:     by_value
      - .offset:         96
        .size:           8
        .value_kind:     by_value
      - .offset:         104
        .size:           8
        .value_kind:     by_value
      - .offset:         112
        .size:           4
        .value_kind:     by_value
      - .offset:         120
        .size:           4
        .value_kind:     hidden_block_count_x
      - .offset:         124
        .size:           4
        .value_kind:     hidden_block_count_y
      - .offset:         128
        .size:           4
        .value_kind:     hidden_block_count_z
      - .offset:         132
        .size:           2
        .value_kind:     hidden_group_size_x
      - .offset:         134
        .size:           2
        .value_kind:     hidden_group_size_y
      - .offset:         136
        .size:           2
        .value_kind:     hidden_group_size_z
      - .offset:         138
        .size:           2
        .value_kind:     hidden_remainder_x
      - .offset:         140
        .size:           2
        .value_kind:     hidden_remainder_y
      - .offset:         142
        .size:           2
        .value_kind:     hidden_remainder_z
      - .offset:         160
        .size:           8
        .value_kind:     hidden_global_offset_x
      - .offset:         168
        .size:           8
        .value_kind:     hidden_global_offset_y
      - .offset:         176
        .size:           8
        .value_kind:     hidden_global_offset_z
      - .offset:         184
        .size:           2
        .value_kind:     hidden_grid_dims
    .group_segment_fixed_size: 0
    .kernarg_segment_align: 8
    .kernarg_segment_size: 376
    .language:       OpenCL C
    .language_version:
      - 2
      - 0
    .max_flat_workgroup_size: 1024
    .name:           _ZL19rocblas_syr2_kernelILi128ELi8ELi2EfPKPKfPKPfEvbiT2_T3_lllS8_lllT4_llli
    .private_segment_fixed_size: 0
    .sgpr_count:     38
    .sgpr_spill_count: 0
    .symbol:         _ZL19rocblas_syr2_kernelILi128ELi8ELi2EfPKPKfPKPfEvbiT2_T3_lllS8_lllT4_llli.kd
    .uniform_work_group_size: 1
    .uses_dynamic_stack: false
    .vgpr_count:     17
    .vgpr_spill_count: 0
    .wavefront_size: 64
  - .args:
      - .offset:         0
        .size:           1
        .value_kind:     by_value
      - .offset:         4
        .size:           4
        .value_kind:     by_value
      - .address_space:  global
        .offset:         8
        .size:           8
        .value_kind:     global_buffer
      - .address_space:  global
        .offset:         16
        .size:           8
        .value_kind:     global_buffer
      - .offset:         24
        .size:           8
        .value_kind:     by_value
      - .offset:         32
        .size:           8
        .value_kind:     by_value
      - .offset:         40
        .size:           8
        .value_kind:     by_value
      - .address_space:  global
        .offset:         48
        .size:           8
        .value_kind:     global_buffer
      - .offset:         56
        .size:           8
        .value_kind:     by_value
      - .offset:         64
        .size:           8
        .value_kind:     by_value
      - .offset:         72
        .size:           8
        .value_kind:     by_value
      - .address_space:  global
        .offset:         80
        .size:           8
        .value_kind:     global_buffer
      - .offset:         88
        .size:           8
        .value_kind:     by_value
      - .offset:         96
        .size:           8
        .value_kind:     by_value
      - .offset:         104
        .size:           8
        .value_kind:     by_value
      - .offset:         112
        .size:           4
        .value_kind:     by_value
      - .offset:         120
        .size:           4
        .value_kind:     hidden_block_count_x
      - .offset:         124
        .size:           4
        .value_kind:     hidden_block_count_y
      - .offset:         128
        .size:           4
        .value_kind:     hidden_block_count_z
      - .offset:         132
        .size:           2
        .value_kind:     hidden_group_size_x
      - .offset:         134
        .size:           2
        .value_kind:     hidden_group_size_y
      - .offset:         136
        .size:           2
        .value_kind:     hidden_group_size_z
      - .offset:         138
        .size:           2
        .value_kind:     hidden_remainder_x
      - .offset:         140
        .size:           2
        .value_kind:     hidden_remainder_y
      - .offset:         142
        .size:           2
        .value_kind:     hidden_remainder_z
      - .offset:         160
        .size:           8
        .value_kind:     hidden_global_offset_x
      - .offset:         168
        .size:           8
        .value_kind:     hidden_global_offset_y
      - .offset:         176
        .size:           8
        .value_kind:     hidden_global_offset_z
      - .offset:         184
        .size:           2
        .value_kind:     hidden_grid_dims
    .group_segment_fixed_size: 0
    .kernarg_segment_align: 8
    .kernarg_segment_size: 376
    .language:       OpenCL C
    .language_version:
      - 2
      - 0
    .max_flat_workgroup_size: 1024
    .name:           _ZL19rocblas_syr2_kernelILi128ELi8ELi1EPKdPKS1_PKPdEvbiT2_T3_lllS8_lllT4_llli
    .private_segment_fixed_size: 0
    .sgpr_count:     34
    .sgpr_spill_count: 0
    .symbol:         _ZL19rocblas_syr2_kernelILi128ELi8ELi1EPKdPKS1_PKPdEvbiT2_T3_lllS8_lllT4_llli.kd
    .uniform_work_group_size: 1
    .uses_dynamic_stack: false
    .vgpr_count:     19
    .vgpr_spill_count: 0
    .wavefront_size: 64
  - .args:
      - .offset:         0
        .size:           1
        .value_kind:     by_value
      - .offset:         4
        .size:           4
        .value_kind:     by_value
      - .offset:         8
        .size:           8
        .value_kind:     by_value
      - .address_space:  global
        .offset:         16
        .size:           8
        .value_kind:     global_buffer
      - .offset:         24
        .size:           8
        .value_kind:     by_value
      - .offset:         32
        .size:           8
        .value_kind:     by_value
      - .offset:         40
        .size:           8
        .value_kind:     by_value
      - .address_space:  global
        .offset:         48
        .size:           8
        .value_kind:     global_buffer
      - .offset:         56
        .size:           8
        .value_kind:     by_value
      - .offset:         64
        .size:           8
        .value_kind:     by_value
      - .offset:         72
        .size:           8
        .value_kind:     by_value
      - .address_space:  global
        .offset:         80
        .size:           8
        .value_kind:     global_buffer
      - .offset:         88
        .size:           8
        .value_kind:     by_value
      - .offset:         96
        .size:           8
        .value_kind:     by_value
      - .offset:         104
        .size:           8
        .value_kind:     by_value
      - .offset:         112
        .size:           4
        .value_kind:     by_value
      - .offset:         120
        .size:           4
        .value_kind:     hidden_block_count_x
      - .offset:         124
        .size:           4
        .value_kind:     hidden_block_count_y
      - .offset:         128
        .size:           4
        .value_kind:     hidden_block_count_z
      - .offset:         132
        .size:           2
        .value_kind:     hidden_group_size_x
      - .offset:         134
        .size:           2
        .value_kind:     hidden_group_size_y
      - .offset:         136
        .size:           2
        .value_kind:     hidden_group_size_z
      - .offset:         138
        .size:           2
        .value_kind:     hidden_remainder_x
      - .offset:         140
        .size:           2
        .value_kind:     hidden_remainder_y
      - .offset:         142
        .size:           2
        .value_kind:     hidden_remainder_z
      - .offset:         160
        .size:           8
        .value_kind:     hidden_global_offset_x
      - .offset:         168
        .size:           8
        .value_kind:     hidden_global_offset_y
      - .offset:         176
        .size:           8
        .value_kind:     hidden_global_offset_z
      - .offset:         184
        .size:           2
        .value_kind:     hidden_grid_dims
    .group_segment_fixed_size: 0
    .kernarg_segment_align: 8
    .kernarg_segment_size: 376
    .language:       OpenCL C
    .language_version:
      - 2
      - 0
    .max_flat_workgroup_size: 1024
    .name:           _ZL19rocblas_syr2_kernelILi128ELi8ELi1EdPKPKdPKPdEvbiT2_T3_lllS8_lllT4_llli
    .private_segment_fixed_size: 0
    .sgpr_count:     34
    .sgpr_spill_count: 0
    .symbol:         _ZL19rocblas_syr2_kernelILi128ELi8ELi1EdPKPKdPKPdEvbiT2_T3_lllS8_lllT4_llli.kd
    .uniform_work_group_size: 1
    .uses_dynamic_stack: false
    .vgpr_count:     19
    .vgpr_spill_count: 0
    .wavefront_size: 64
  - .args:
      - .offset:         0
        .size:           1
        .value_kind:     by_value
      - .offset:         4
        .size:           4
        .value_kind:     by_value
      - .address_space:  global
        .offset:         8
        .size:           8
        .value_kind:     global_buffer
      - .address_space:  global
        .offset:         16
        .size:           8
        .value_kind:     global_buffer
      - .offset:         24
        .size:           8
        .value_kind:     by_value
      - .offset:         32
        .size:           8
        .value_kind:     by_value
      - .offset:         40
        .size:           8
        .value_kind:     by_value
      - .address_space:  global
        .offset:         48
        .size:           8
        .value_kind:     global_buffer
      - .offset:         56
        .size:           8
        .value_kind:     by_value
      - .offset:         64
        .size:           8
        .value_kind:     by_value
      - .offset:         72
        .size:           8
        .value_kind:     by_value
      - .address_space:  global
        .offset:         80
        .size:           8
        .value_kind:     global_buffer
      - .offset:         88
        .size:           8
        .value_kind:     by_value
      - .offset:         96
        .size:           8
        .value_kind:     by_value
      - .offset:         104
        .size:           8
        .value_kind:     by_value
      - .offset:         112
        .size:           4
        .value_kind:     by_value
      - .offset:         120
        .size:           4
        .value_kind:     hidden_block_count_x
      - .offset:         124
        .size:           4
        .value_kind:     hidden_block_count_y
      - .offset:         128
        .size:           4
        .value_kind:     hidden_block_count_z
      - .offset:         132
        .size:           2
        .value_kind:     hidden_group_size_x
      - .offset:         134
        .size:           2
        .value_kind:     hidden_group_size_y
      - .offset:         136
        .size:           2
        .value_kind:     hidden_group_size_z
      - .offset:         138
        .size:           2
        .value_kind:     hidden_remainder_x
      - .offset:         140
        .size:           2
        .value_kind:     hidden_remainder_y
      - .offset:         142
        .size:           2
        .value_kind:     hidden_remainder_z
      - .offset:         160
        .size:           8
        .value_kind:     hidden_global_offset_x
      - .offset:         168
        .size:           8
        .value_kind:     hidden_global_offset_y
      - .offset:         176
        .size:           8
        .value_kind:     hidden_global_offset_z
      - .offset:         184
        .size:           2
        .value_kind:     hidden_grid_dims
    .group_segment_fixed_size: 0
    .kernarg_segment_align: 8
    .kernarg_segment_size: 376
    .language:       OpenCL C
    .language_version:
      - 2
      - 0
    .max_flat_workgroup_size: 1024
    .name:           _ZL19rocblas_syr2_kernelILi128ELi8ELi1EPK19rocblas_complex_numIfEPKS3_PKPS1_EvbiT2_T3_lllSA_lllT4_llli
    .private_segment_fixed_size: 0
    .sgpr_count:     32
    .sgpr_spill_count: 0
    .symbol:         _ZL19rocblas_syr2_kernelILi128ELi8ELi1EPK19rocblas_complex_numIfEPKS3_PKPS1_EvbiT2_T3_lllSA_lllT4_llli.kd
    .uniform_work_group_size: 1
    .uses_dynamic_stack: false
    .vgpr_count:     18
    .vgpr_spill_count: 0
    .wavefront_size: 64
  - .args:
      - .offset:         0
        .size:           1
        .value_kind:     by_value
      - .offset:         4
        .size:           4
        .value_kind:     by_value
      - .offset:         8
        .size:           8
        .value_kind:     by_value
      - .address_space:  global
        .offset:         16
        .size:           8
        .value_kind:     global_buffer
      - .offset:         24
        .size:           8
        .value_kind:     by_value
      - .offset:         32
        .size:           8
        .value_kind:     by_value
      - .offset:         40
        .size:           8
        .value_kind:     by_value
      - .address_space:  global
        .offset:         48
        .size:           8
        .value_kind:     global_buffer
      - .offset:         56
        .size:           8
        .value_kind:     by_value
      - .offset:         64
        .size:           8
        .value_kind:     by_value
      - .offset:         72
        .size:           8
        .value_kind:     by_value
      - .address_space:  global
        .offset:         80
        .size:           8
        .value_kind:     global_buffer
      - .offset:         88
        .size:           8
        .value_kind:     by_value
      - .offset:         96
        .size:           8
        .value_kind:     by_value
      - .offset:         104
        .size:           8
        .value_kind:     by_value
      - .offset:         112
        .size:           4
        .value_kind:     by_value
      - .offset:         120
        .size:           4
        .value_kind:     hidden_block_count_x
      - .offset:         124
        .size:           4
        .value_kind:     hidden_block_count_y
      - .offset:         128
        .size:           4
        .value_kind:     hidden_block_count_z
      - .offset:         132
        .size:           2
        .value_kind:     hidden_group_size_x
      - .offset:         134
        .size:           2
        .value_kind:     hidden_group_size_y
      - .offset:         136
        .size:           2
        .value_kind:     hidden_group_size_z
      - .offset:         138
        .size:           2
        .value_kind:     hidden_remainder_x
      - .offset:         140
        .size:           2
        .value_kind:     hidden_remainder_y
      - .offset:         142
        .size:           2
        .value_kind:     hidden_remainder_z
      - .offset:         160
        .size:           8
        .value_kind:     hidden_global_offset_x
      - .offset:         168
        .size:           8
        .value_kind:     hidden_global_offset_y
      - .offset:         176
        .size:           8
        .value_kind:     hidden_global_offset_z
      - .offset:         184
        .size:           2
        .value_kind:     hidden_grid_dims
    .group_segment_fixed_size: 0
    .kernarg_segment_align: 8
    .kernarg_segment_size: 376
    .language:       OpenCL C
    .language_version:
      - 2
      - 0
    .max_flat_workgroup_size: 1024
    .name:           _ZL19rocblas_syr2_kernelILi128ELi8ELi1E19rocblas_complex_numIfEPKPKS1_PKPS1_EvbiT2_T3_lllSA_lllT4_llli
    .private_segment_fixed_size: 0
    .sgpr_count:     32
    .sgpr_spill_count: 0
    .symbol:         _ZL19rocblas_syr2_kernelILi128ELi8ELi1E19rocblas_complex_numIfEPKPKS1_PKPS1_EvbiT2_T3_lllSA_lllT4_llli.kd
    .uniform_work_group_size: 1
    .uses_dynamic_stack: false
    .vgpr_count:     15
    .vgpr_spill_count: 0
    .wavefront_size: 64
  - .args:
      - .offset:         0
        .size:           1
        .value_kind:     by_value
      - .offset:         4
        .size:           4
        .value_kind:     by_value
      - .address_space:  global
        .offset:         8
        .size:           8
        .value_kind:     global_buffer
      - .address_space:  global
        .offset:         16
        .size:           8
        .value_kind:     global_buffer
      - .offset:         24
        .size:           8
        .value_kind:     by_value
      - .offset:         32
        .size:           8
        .value_kind:     by_value
      - .offset:         40
        .size:           8
        .value_kind:     by_value
      - .address_space:  global
        .offset:         48
        .size:           8
        .value_kind:     global_buffer
      - .offset:         56
        .size:           8
        .value_kind:     by_value
      - .offset:         64
        .size:           8
        .value_kind:     by_value
      - .offset:         72
        .size:           8
        .value_kind:     by_value
      - .address_space:  global
        .offset:         80
        .size:           8
        .value_kind:     global_buffer
      - .offset:         88
        .size:           8
        .value_kind:     by_value
      - .offset:         96
        .size:           8
        .value_kind:     by_value
      - .offset:         104
        .size:           8
        .value_kind:     by_value
      - .offset:         112
        .size:           4
        .value_kind:     by_value
      - .offset:         120
        .size:           4
        .value_kind:     hidden_block_count_x
      - .offset:         124
        .size:           4
        .value_kind:     hidden_block_count_y
      - .offset:         128
        .size:           4
        .value_kind:     hidden_block_count_z
      - .offset:         132
        .size:           2
        .value_kind:     hidden_group_size_x
      - .offset:         134
        .size:           2
        .value_kind:     hidden_group_size_y
      - .offset:         136
        .size:           2
        .value_kind:     hidden_group_size_z
      - .offset:         138
        .size:           2
        .value_kind:     hidden_remainder_x
      - .offset:         140
        .size:           2
        .value_kind:     hidden_remainder_y
      - .offset:         142
        .size:           2
        .value_kind:     hidden_remainder_z
      - .offset:         160
        .size:           8
        .value_kind:     hidden_global_offset_x
      - .offset:         168
        .size:           8
        .value_kind:     hidden_global_offset_y
      - .offset:         176
        .size:           8
        .value_kind:     hidden_global_offset_z
      - .offset:         184
        .size:           2
        .value_kind:     hidden_grid_dims
    .group_segment_fixed_size: 0
    .kernarg_segment_align: 8
    .kernarg_segment_size: 376
    .language:       OpenCL C
    .language_version:
      - 2
      - 0
    .max_flat_workgroup_size: 1024
    .name:           _ZL19rocblas_syr2_kernelILi128ELi8ELi1EPK19rocblas_complex_numIdEPKS3_PKPS1_EvbiT2_T3_lllSA_lllT4_llli
    .private_segment_fixed_size: 0
    .sgpr_count:     36
    .sgpr_spill_count: 0
    .symbol:         _ZL19rocblas_syr2_kernelILi128ELi8ELi1EPK19rocblas_complex_numIdEPKS3_PKPS1_EvbiT2_T3_lllSA_lllT4_llli.kd
    .uniform_work_group_size: 1
    .uses_dynamic_stack: false
    .vgpr_count:     21
    .vgpr_spill_count: 0
    .wavefront_size: 64
  - .args:
      - .offset:         0
        .size:           1
        .value_kind:     by_value
      - .offset:         4
        .size:           4
        .value_kind:     by_value
      - .offset:         8
        .size:           16
        .value_kind:     by_value
      - .address_space:  global
        .offset:         24
        .size:           8
        .value_kind:     global_buffer
      - .offset:         32
        .size:           8
        .value_kind:     by_value
      - .offset:         40
        .size:           8
        .value_kind:     by_value
      - .offset:         48
        .size:           8
        .value_kind:     by_value
      - .address_space:  global
        .offset:         56
        .size:           8
        .value_kind:     global_buffer
      - .offset:         64
        .size:           8
        .value_kind:     by_value
      - .offset:         72
        .size:           8
        .value_kind:     by_value
      - .offset:         80
        .size:           8
        .value_kind:     by_value
      - .address_space:  global
        .offset:         88
        .size:           8
        .value_kind:     global_buffer
      - .offset:         96
        .size:           8
        .value_kind:     by_value
      - .offset:         104
        .size:           8
        .value_kind:     by_value
      - .offset:         112
        .size:           8
        .value_kind:     by_value
      - .offset:         120
        .size:           4
        .value_kind:     by_value
      - .offset:         128
        .size:           4
        .value_kind:     hidden_block_count_x
      - .offset:         132
        .size:           4
        .value_kind:     hidden_block_count_y
      - .offset:         136
        .size:           4
        .value_kind:     hidden_block_count_z
      - .offset:         140
        .size:           2
        .value_kind:     hidden_group_size_x
      - .offset:         142
        .size:           2
        .value_kind:     hidden_group_size_y
      - .offset:         144
        .size:           2
        .value_kind:     hidden_group_size_z
      - .offset:         146
        .size:           2
        .value_kind:     hidden_remainder_x
      - .offset:         148
        .size:           2
        .value_kind:     hidden_remainder_y
      - .offset:         150
        .size:           2
        .value_kind:     hidden_remainder_z
      - .offset:         168
        .size:           8
        .value_kind:     hidden_global_offset_x
      - .offset:         176
        .size:           8
        .value_kind:     hidden_global_offset_y
      - .offset:         184
        .size:           8
        .value_kind:     hidden_global_offset_z
      - .offset:         192
        .size:           2
        .value_kind:     hidden_grid_dims
    .group_segment_fixed_size: 0
    .kernarg_segment_align: 8
    .kernarg_segment_size: 384
    .language:       OpenCL C
    .language_version:
      - 2
      - 0
    .max_flat_workgroup_size: 1024
    .name:           _ZL19rocblas_syr2_kernelILi128ELi8ELi1E19rocblas_complex_numIdEPKPKS1_PKPS1_EvbiT2_T3_lllSA_lllT4_llli
    .private_segment_fixed_size: 0
    .sgpr_count:     34
    .sgpr_spill_count: 0
    .symbol:         _ZL19rocblas_syr2_kernelILi128ELi8ELi1E19rocblas_complex_numIdEPKPKS1_PKPS1_EvbiT2_T3_lllSA_lllT4_llli.kd
    .uniform_work_group_size: 1
    .uses_dynamic_stack: false
    .vgpr_count:     21
    .vgpr_spill_count: 0
    .wavefront_size: 64
amdhsa.target:   amdgcn-amd-amdhsa--gfx906
amdhsa.version:
  - 1
  - 2
...

	.end_amdgpu_metadata
